;; amdgpu-corpus repo=ROCm/rocFFT kind=compiled arch=gfx906 opt=O3
	.text
	.amdgcn_target "amdgcn-amd-amdhsa--gfx906"
	.amdhsa_code_object_version 6
	.protected	fft_rtc_fwd_len714_factors_3_17_7_2_wgs_51_tpt_51_halfLds_dp_op_CI_CI_sbrr_dirReg ; -- Begin function fft_rtc_fwd_len714_factors_3_17_7_2_wgs_51_tpt_51_halfLds_dp_op_CI_CI_sbrr_dirReg
	.globl	fft_rtc_fwd_len714_factors_3_17_7_2_wgs_51_tpt_51_halfLds_dp_op_CI_CI_sbrr_dirReg
	.p2align	8
	.type	fft_rtc_fwd_len714_factors_3_17_7_2_wgs_51_tpt_51_halfLds_dp_op_CI_CI_sbrr_dirReg,@function
fft_rtc_fwd_len714_factors_3_17_7_2_wgs_51_tpt_51_halfLds_dp_op_CI_CI_sbrr_dirReg: ; @fft_rtc_fwd_len714_factors_3_17_7_2_wgs_51_tpt_51_halfLds_dp_op_CI_CI_sbrr_dirReg
; %bb.0:
	s_load_dwordx4 s[16:19], s[4:5], 0x18
	s_load_dwordx4 s[12:15], s[4:5], 0x0
	;; [unrolled: 1-line block ×3, first 2 shown]
	v_mul_u32_u24_e32 v1, 0x506, v0
	v_add_u32_sdwa v6, s6, v1 dst_sel:DWORD dst_unused:UNUSED_PAD src0_sel:DWORD src1_sel:WORD_1
	s_waitcnt lgkmcnt(0)
	s_load_dwordx2 s[2:3], s[16:17], 0x0
	s_load_dwordx2 s[20:21], s[18:19], 0x0
	v_cmp_lt_u64_e64 s[0:1], s[14:15], 2
	v_mov_b32_e32 v1, 0
	v_mov_b32_e32 v4, 0
	;; [unrolled: 1-line block ×3, first 2 shown]
	s_and_b64 vcc, exec, s[0:1]
	v_mov_b32_e32 v5, 0
	s_cbranch_vccnz .LBB0_8
; %bb.1:
	s_load_dwordx2 s[0:1], s[4:5], 0x10
	s_add_u32 s6, s18, 8
	s_addc_u32 s7, s19, 0
	s_add_u32 s22, s16, 8
	v_mov_b32_e32 v4, 0
	s_addc_u32 s23, s17, 0
	v_mov_b32_e32 v5, 0
	s_waitcnt lgkmcnt(0)
	s_add_u32 s24, s0, 8
	v_mov_b32_e32 v93, v5
	s_addc_u32 s25, s1, 0
	s_mov_b64 s[26:27], 1
	v_mov_b32_e32 v92, v4
.LBB0_2:                                ; =>This Inner Loop Header: Depth=1
	s_load_dwordx2 s[28:29], s[24:25], 0x0
                                        ; implicit-def: $vgpr96_vgpr97
	s_waitcnt lgkmcnt(0)
	v_or_b32_e32 v2, s29, v7
	v_cmp_ne_u64_e32 vcc, 0, v[1:2]
	s_and_saveexec_b64 s[0:1], vcc
	s_xor_b64 s[30:31], exec, s[0:1]
	s_cbranch_execz .LBB0_4
; %bb.3:                                ;   in Loop: Header=BB0_2 Depth=1
	v_cvt_f32_u32_e32 v2, s28
	v_cvt_f32_u32_e32 v3, s29
	s_sub_u32 s0, 0, s28
	s_subb_u32 s1, 0, s29
	v_mac_f32_e32 v2, 0x4f800000, v3
	v_rcp_f32_e32 v2, v2
	v_mul_f32_e32 v2, 0x5f7ffffc, v2
	v_mul_f32_e32 v3, 0x2f800000, v2
	v_trunc_f32_e32 v3, v3
	v_mac_f32_e32 v2, 0xcf800000, v3
	v_cvt_u32_f32_e32 v3, v3
	v_cvt_u32_f32_e32 v2, v2
	v_mul_lo_u32 v8, s0, v3
	v_mul_hi_u32 v9, s0, v2
	v_mul_lo_u32 v11, s1, v2
	v_mul_lo_u32 v10, s0, v2
	v_add_u32_e32 v8, v9, v8
	v_add_u32_e32 v8, v8, v11
	v_mul_hi_u32 v9, v2, v10
	v_mul_lo_u32 v11, v2, v8
	v_mul_hi_u32 v13, v2, v8
	v_mul_hi_u32 v12, v3, v10
	v_mul_lo_u32 v10, v3, v10
	v_mul_hi_u32 v14, v3, v8
	v_add_co_u32_e32 v9, vcc, v9, v11
	v_addc_co_u32_e32 v11, vcc, 0, v13, vcc
	v_mul_lo_u32 v8, v3, v8
	v_add_co_u32_e32 v9, vcc, v9, v10
	v_addc_co_u32_e32 v9, vcc, v11, v12, vcc
	v_addc_co_u32_e32 v10, vcc, 0, v14, vcc
	v_add_co_u32_e32 v8, vcc, v9, v8
	v_addc_co_u32_e32 v9, vcc, 0, v10, vcc
	v_add_co_u32_e32 v2, vcc, v2, v8
	v_addc_co_u32_e32 v3, vcc, v3, v9, vcc
	v_mul_lo_u32 v8, s0, v3
	v_mul_hi_u32 v9, s0, v2
	v_mul_lo_u32 v10, s1, v2
	v_mul_lo_u32 v11, s0, v2
	v_add_u32_e32 v8, v9, v8
	v_add_u32_e32 v8, v8, v10
	v_mul_lo_u32 v12, v2, v8
	v_mul_hi_u32 v13, v2, v11
	v_mul_hi_u32 v14, v2, v8
	;; [unrolled: 1-line block ×3, first 2 shown]
	v_mul_lo_u32 v11, v3, v11
	v_mul_hi_u32 v9, v3, v8
	v_add_co_u32_e32 v12, vcc, v13, v12
	v_addc_co_u32_e32 v13, vcc, 0, v14, vcc
	v_mul_lo_u32 v8, v3, v8
	v_add_co_u32_e32 v11, vcc, v12, v11
	v_addc_co_u32_e32 v10, vcc, v13, v10, vcc
	v_addc_co_u32_e32 v9, vcc, 0, v9, vcc
	v_add_co_u32_e32 v8, vcc, v10, v8
	v_addc_co_u32_e32 v9, vcc, 0, v9, vcc
	v_add_co_u32_e32 v8, vcc, v2, v8
	v_addc_co_u32_e32 v9, vcc, v3, v9, vcc
	v_mad_u64_u32 v[2:3], s[0:1], v6, v9, 0
	v_mul_hi_u32 v10, v6, v8
	v_add_co_u32_e32 v10, vcc, v10, v2
	v_addc_co_u32_e32 v11, vcc, 0, v3, vcc
	v_mad_u64_u32 v[2:3], s[0:1], v7, v8, 0
	v_mad_u64_u32 v[8:9], s[0:1], v7, v9, 0
	v_add_co_u32_e32 v2, vcc, v10, v2
	v_addc_co_u32_e32 v2, vcc, v11, v3, vcc
	v_addc_co_u32_e32 v3, vcc, 0, v9, vcc
	v_add_co_u32_e32 v8, vcc, v2, v8
	v_addc_co_u32_e32 v9, vcc, 0, v3, vcc
	v_mul_lo_u32 v10, s29, v8
	v_mul_lo_u32 v11, s28, v9
	v_mad_u64_u32 v[2:3], s[0:1], s28, v8, 0
	v_add3_u32 v3, v3, v11, v10
	v_sub_u32_e32 v10, v7, v3
	v_mov_b32_e32 v11, s29
	v_sub_co_u32_e32 v2, vcc, v6, v2
	v_subb_co_u32_e64 v10, s[0:1], v10, v11, vcc
	v_subrev_co_u32_e64 v11, s[0:1], s28, v2
	v_subbrev_co_u32_e64 v10, s[0:1], 0, v10, s[0:1]
	v_cmp_le_u32_e64 s[0:1], s29, v10
	v_cndmask_b32_e64 v12, 0, -1, s[0:1]
	v_cmp_le_u32_e64 s[0:1], s28, v11
	v_cndmask_b32_e64 v11, 0, -1, s[0:1]
	v_cmp_eq_u32_e64 s[0:1], s29, v10
	v_cndmask_b32_e64 v10, v12, v11, s[0:1]
	v_add_co_u32_e64 v11, s[0:1], 2, v8
	v_addc_co_u32_e64 v12, s[0:1], 0, v9, s[0:1]
	v_add_co_u32_e64 v13, s[0:1], 1, v8
	v_addc_co_u32_e64 v14, s[0:1], 0, v9, s[0:1]
	v_subb_co_u32_e32 v3, vcc, v7, v3, vcc
	v_cmp_ne_u32_e64 s[0:1], 0, v10
	v_cmp_le_u32_e32 vcc, s29, v3
	v_cndmask_b32_e64 v10, v14, v12, s[0:1]
	v_cndmask_b32_e64 v12, 0, -1, vcc
	v_cmp_le_u32_e32 vcc, s28, v2
	v_cndmask_b32_e64 v2, 0, -1, vcc
	v_cmp_eq_u32_e32 vcc, s29, v3
	v_cndmask_b32_e32 v2, v12, v2, vcc
	v_cmp_ne_u32_e32 vcc, 0, v2
	v_cndmask_b32_e64 v2, v13, v11, s[0:1]
	v_cndmask_b32_e32 v97, v9, v10, vcc
	v_cndmask_b32_e32 v96, v8, v2, vcc
.LBB0_4:                                ;   in Loop: Header=BB0_2 Depth=1
	s_andn2_saveexec_b64 s[0:1], s[30:31]
	s_cbranch_execz .LBB0_6
; %bb.5:                                ;   in Loop: Header=BB0_2 Depth=1
	v_cvt_f32_u32_e32 v2, s28
	s_sub_i32 s30, 0, s28
	v_mov_b32_e32 v97, v1
	v_rcp_iflag_f32_e32 v2, v2
	v_mul_f32_e32 v2, 0x4f7ffffe, v2
	v_cvt_u32_f32_e32 v2, v2
	v_mul_lo_u32 v3, s30, v2
	v_mul_hi_u32 v3, v2, v3
	v_add_u32_e32 v2, v2, v3
	v_mul_hi_u32 v2, v6, v2
	v_mul_lo_u32 v3, v2, s28
	v_add_u32_e32 v8, 1, v2
	v_sub_u32_e32 v3, v6, v3
	v_subrev_u32_e32 v9, s28, v3
	v_cmp_le_u32_e32 vcc, s28, v3
	v_cndmask_b32_e32 v3, v3, v9, vcc
	v_cndmask_b32_e32 v2, v2, v8, vcc
	v_add_u32_e32 v8, 1, v2
	v_cmp_le_u32_e32 vcc, s28, v3
	v_cndmask_b32_e32 v96, v2, v8, vcc
.LBB0_6:                                ;   in Loop: Header=BB0_2 Depth=1
	s_or_b64 exec, exec, s[0:1]
	v_mul_lo_u32 v8, v97, s28
	v_mul_lo_u32 v9, v96, s29
	v_mad_u64_u32 v[2:3], s[0:1], v96, s28, 0
	s_load_dwordx2 s[0:1], s[22:23], 0x0
	s_load_dwordx2 s[28:29], s[6:7], 0x0
	v_add3_u32 v3, v3, v9, v8
	v_sub_co_u32_e32 v2, vcc, v6, v2
	v_subb_co_u32_e32 v3, vcc, v7, v3, vcc
	s_waitcnt lgkmcnt(0)
	v_mul_lo_u32 v6, s0, v3
	v_mul_lo_u32 v7, s1, v2
	v_mad_u64_u32 v[4:5], s[0:1], s0, v2, v[4:5]
	v_mul_lo_u32 v3, s28, v3
	v_mul_lo_u32 v8, s29, v2
	v_mad_u64_u32 v[92:93], s[0:1], s28, v2, v[92:93]
	s_add_u32 s26, s26, 1
	s_addc_u32 s27, s27, 0
	s_add_u32 s6, s6, 8
	v_add3_u32 v93, v8, v93, v3
	s_addc_u32 s7, s7, 0
	v_mov_b32_e32 v2, s14
	s_add_u32 s22, s22, 8
	v_mov_b32_e32 v3, s15
	s_addc_u32 s23, s23, 0
	v_cmp_ge_u64_e32 vcc, s[26:27], v[2:3]
	s_add_u32 s24, s24, 8
	v_add3_u32 v5, v7, v5, v6
	s_addc_u32 s25, s25, 0
	s_cbranch_vccnz .LBB0_9
; %bb.7:                                ;   in Loop: Header=BB0_2 Depth=1
	v_mov_b32_e32 v6, v96
	v_mov_b32_e32 v7, v97
	s_branch .LBB0_2
.LBB0_8:
	v_mov_b32_e32 v93, v5
	v_mov_b32_e32 v97, v7
	;; [unrolled: 1-line block ×4, first 2 shown]
.LBB0_9:
	s_load_dwordx2 s[0:1], s[4:5], 0x28
	s_lshl_b64 s[14:15], s[14:15], 3
	s_add_u32 s4, s18, s14
	s_addc_u32 s5, s19, s15
                                        ; implicit-def: $vgpr94
                                        ; implicit-def: $vgpr98
                                        ; implicit-def: $vgpr99
                                        ; implicit-def: $vgpr100
	s_waitcnt lgkmcnt(0)
	v_cmp_gt_u64_e32 vcc, s[0:1], v[96:97]
	v_cmp_le_u64_e64 s[0:1], s[0:1], v[96:97]
	s_and_saveexec_b64 s[6:7], s[0:1]
	s_xor_b64 s[0:1], exec, s[6:7]
; %bb.10:
	s_mov_b32 s6, 0x5050506
	v_mul_hi_u32 v1, v0, s6
                                        ; implicit-def: $vgpr4_vgpr5
	v_mul_u32_u24_e32 v1, 51, v1
	v_sub_u32_e32 v94, v0, v1
	v_add_u32_e32 v98, 51, v94
	v_add_u32_e32 v99, 0x66, v94
	;; [unrolled: 1-line block ×3, first 2 shown]
                                        ; implicit-def: $vgpr0
; %bb.11:
	s_or_saveexec_b64 s[6:7], s[0:1]
	s_load_dwordx2 s[4:5], s[4:5], 0x0
                                        ; implicit-def: $vgpr90_vgpr91
                                        ; implicit-def: $vgpr86_vgpr87
                                        ; implicit-def: $vgpr82_vgpr83
                                        ; implicit-def: $vgpr38_vgpr39
                                        ; implicit-def: $vgpr46_vgpr47
                                        ; implicit-def: $vgpr50_vgpr51
                                        ; implicit-def: $vgpr42_vgpr43
                                        ; implicit-def: $vgpr54_vgpr55
                                        ; implicit-def: $vgpr58_vgpr59
                                        ; implicit-def: $vgpr70_vgpr71
                                        ; implicit-def: $vgpr78_vgpr79
                                        ; implicit-def: $vgpr74_vgpr75
                                        ; implicit-def: $vgpr2_vgpr3
                                        ; implicit-def: $vgpr66_vgpr67
                                        ; implicit-def: $vgpr62_vgpr63
	s_xor_b64 exec, exec, s[6:7]
	s_cbranch_execz .LBB0_15
; %bb.12:
	s_add_u32 s0, s16, s14
	s_mov_b32 s14, 0x5050506
	s_addc_u32 s1, s17, s15
	v_mul_hi_u32 v1, v0, s14
	s_load_dwordx2 s[0:1], s[0:1], 0x0
                                        ; implicit-def: $vgpr80_vgpr81
                                        ; implicit-def: $vgpr84_vgpr85
                                        ; implicit-def: $vgpr88_vgpr89
	v_mul_u32_u24_e32 v1, 51, v1
	v_sub_u32_e32 v94, v0, v1
	s_waitcnt lgkmcnt(0)
	v_mul_lo_u32 v8, s1, v96
	v_mad_u64_u32 v[0:1], s[14:15], s2, v94, 0
	v_mul_lo_u32 v9, s0, v97
	v_mad_u64_u32 v[2:3], s[0:1], s0, v96, 0
	v_add_u32_e32 v10, 0xee, v94
	v_add_u32_e32 v98, 51, v94
	v_mad_u64_u32 v[6:7], s[0:1], s3, v94, v[1:2]
	v_add3_u32 v3, v3, v9, v8
	v_lshlrev_b64 v[2:3], 4, v[2:3]
	v_mov_b32_e32 v1, v6
	v_mov_b32_e32 v6, s9
	v_add_co_u32_e64 v8, s[0:1], s8, v2
	v_addc_co_u32_e64 v9, s[0:1], v6, v3, s[0:1]
	v_mad_u64_u32 v[6:7], s[0:1], s2, v10, 0
	v_lshlrev_b64 v[2:3], 4, v[4:5]
	v_lshlrev_b64 v[0:1], 4, v[0:1]
	v_add_co_u32_e64 v4, s[0:1], v8, v2
	v_mov_b32_e32 v2, v7
	v_addc_co_u32_e64 v5, s[0:1], v9, v3, s[0:1]
	v_mad_u64_u32 v[2:3], s[0:1], s3, v10, v[2:3]
	v_add_u32_e32 v10, 0x1dc, v94
	v_mad_u64_u32 v[8:9], s[0:1], s2, v10, 0
	v_mov_b32_e32 v7, v2
	v_add_co_u32_e64 v0, s[0:1], v4, v0
	v_lshlrev_b64 v[2:3], 4, v[6:7]
	v_mov_b32_e32 v6, v9
	v_addc_co_u32_e64 v1, s[0:1], v5, v1, s[0:1]
	v_mad_u64_u32 v[6:7], s[0:1], s3, v10, v[6:7]
	v_mad_u64_u32 v[10:11], s[0:1], s2, v98, 0
	v_mov_b32_e32 v9, v6
	v_add_co_u32_e64 v2, s[0:1], v4, v2
	v_lshlrev_b64 v[6:7], 4, v[8:9]
	v_mov_b32_e32 v8, v11
	v_addc_co_u32_e64 v3, s[0:1], v5, v3, s[0:1]
	v_mad_u64_u32 v[8:9], s[0:1], s3, v98, v[8:9]
	v_add_u32_e32 v14, 0x121, v94
	v_mad_u64_u32 v[12:13], s[0:1], s2, v14, 0
	v_mov_b32_e32 v11, v8
	v_add_co_u32_e64 v6, s[0:1], v4, v6
	v_lshlrev_b64 v[8:9], 4, v[10:11]
	v_mov_b32_e32 v10, v13
	v_addc_co_u32_e64 v7, s[0:1], v5, v7, s[0:1]
	v_mad_u64_u32 v[10:11], s[0:1], s3, v14, v[10:11]
	v_add_u32_e32 v16, 0x20f, v94
	;; [unrolled: 8-line block ×6, first 2 shown]
	v_mad_u64_u32 v[22:23], s[0:1], s2, v100, 0
	v_mov_b32_e32 v21, v18
	v_add_co_u32_e64 v16, s[0:1], v4, v16
	v_lshlrev_b64 v[18:19], 4, v[20:21]
	v_mov_b32_e32 v20, v23
	v_addc_co_u32_e64 v17, s[0:1], v5, v17, s[0:1]
	v_mad_u64_u32 v[20:21], s[0:1], s3, v100, v[20:21]
	v_add_co_u32_e64 v18, s[0:1], v4, v18
	v_mov_b32_e32 v23, v20
	v_add_u32_e32 v24, 0x187, v94
	v_addc_co_u32_e64 v19, s[0:1], v5, v19, s[0:1]
	v_lshlrev_b64 v[20:21], 4, v[22:23]
	v_mad_u64_u32 v[22:23], s[0:1], s2, v24, 0
	v_add_co_u32_e64 v20, s[0:1], v4, v20
	v_addc_co_u32_e64 v21, s[0:1], v5, v21, s[0:1]
	v_mad_u64_u32 v[23:24], s[0:1], s3, v24, v[23:24]
	v_add_u32_e32 v26, 0x275, v94
	v_mad_u64_u32 v[24:25], s[0:1], s2, v26, 0
	global_load_dwordx4 v[60:63], v[0:1], off
	global_load_dwordx4 v[64:67], v[2:3], off
	v_lshlrev_b64 v[0:1], 4, v[22:23]
	v_mov_b32_e32 v2, v25
	v_mad_u64_u32 v[2:3], s[0:1], s3, v26, v[2:3]
	v_add_co_u32_e64 v22, s[0:1], v4, v0
	v_mov_b32_e32 v25, v2
	v_addc_co_u32_e64 v23, s[0:1], v5, v1, s[0:1]
	v_lshlrev_b64 v[0:1], 4, v[24:25]
	v_add_co_u32_e64 v24, s[0:1], v4, v0
	v_addc_co_u32_e64 v25, s[0:1], v5, v1, s[0:1]
	global_load_dwordx4 v[0:3], v[6:7], off
	global_load_dwordx4 v[72:75], v[8:9], off
	;; [unrolled: 1-line block ×10, first 2 shown]
	v_cmp_gt_u32_e64 s[0:1], 34, v94
	s_and_saveexec_b64 s[8:9], s[0:1]
	s_cbranch_execz .LBB0_14
; %bb.13:
	v_add_u32_e32 v10, 0xcc, v94
	v_add_u32_e32 v12, 0x1ba, v94
	v_mad_u64_u32 v[6:7], s[0:1], s2, v10, 0
	v_mad_u64_u32 v[8:9], s[0:1], s2, v12, 0
	;; [unrolled: 1-line block ×3, first 2 shown]
	v_mov_b32_e32 v7, v10
	v_mad_u64_u32 v[9:10], s[0:1], s3, v12, v[9:10]
	v_add_u32_e32 v12, 0x2a8, v94
	v_mad_u64_u32 v[10:11], s[0:1], s2, v12, 0
	v_lshlrev_b64 v[6:7], 4, v[6:7]
	v_lshlrev_b64 v[8:9], 4, v[8:9]
	v_add_co_u32_e64 v6, s[0:1], v4, v6
	v_addc_co_u32_e64 v7, s[0:1], v5, v7, s[0:1]
	v_mad_u64_u32 v[11:12], s[0:1], s3, v12, v[11:12]
	v_add_co_u32_e64 v8, s[0:1], v4, v8
	v_addc_co_u32_e64 v9, s[0:1], v5, v9, s[0:1]
	global_load_dwordx4 v[80:83], v[6:7], off
	global_load_dwordx4 v[84:87], v[8:9], off
	v_lshlrev_b64 v[6:7], 4, v[10:11]
	v_add_co_u32_e64 v4, s[0:1], v4, v6
	v_addc_co_u32_e64 v5, s[0:1], v5, v7, s[0:1]
	global_load_dwordx4 v[88:91], v[4:5], off
.LBB0_14:
	s_or_b64 exec, exec, s[8:9]
.LBB0_15:
	s_or_b64 exec, exec, s[6:7]
	s_waitcnt vmcnt(9)
	v_add_f64 v[4:5], v[0:1], v[64:65]
	s_waitcnt vmcnt(6)
	v_add_f64 v[6:7], v[68:69], v[76:77]
	v_add_f64 v[8:9], v[64:65], v[60:61]
	v_add_f64 v[10:11], v[66:67], -v[2:3]
	v_add_f64 v[14:15], v[78:79], -v[70:71]
	v_add_f64 v[12:13], v[76:77], v[72:73]
	s_mov_b32 s0, 0xe8584caa
	s_mov_b32 s1, 0x3febb67a
	v_fma_f64 v[18:19], v[4:5], -0.5, v[60:61]
	v_fma_f64 v[20:21], v[6:7], -0.5, v[72:73]
	s_mov_b32 s3, 0xbfebb67a
	s_mov_b32 s2, s0
	v_add_f64 v[4:5], v[0:1], v[8:9]
	v_add_f64 v[16:17], v[68:69], v[12:13]
	s_waitcnt vmcnt(0)
	v_add_f64 v[12:13], v[36:37], v[44:45]
	v_mad_u32_u24 v95, v94, 24, 0
	v_fma_f64 v[6:7], v[10:11], s[0:1], v[18:19]
	v_fma_f64 v[8:9], v[10:11], s[2:3], v[18:19]
	;; [unrolled: 1-line block ×4, first 2 shown]
	v_add_f64 v[10:11], v[40:41], v[52:53]
	v_add_f64 v[18:19], v[88:89], v[84:85]
	v_mad_i32_i24 v20, v98, 24, 0
	v_add_f64 v[22:23], v[54:55], -v[42:43]
	ds_write2_b64 v95, v[4:5], v[6:7] offset1:1
	ds_write_b64 v95, v[8:9] offset:16
	ds_write2_b64 v20, v[16:17], v[60:61] offset1:1
	v_add_f64 v[28:29], v[44:45], v[48:49]
	v_fma_f64 v[12:13], v[12:13], -0.5, v[48:49]
	ds_write_b64 v20, v[14:15] offset:16
	v_fma_f64 v[10:11], v[10:11], -0.5, v[56:57]
	v_add_f64 v[20:21], v[52:53], v[56:57]
	v_add_f64 v[30:31], v[46:47], -v[38:39]
	v_fma_f64 v[34:35], v[18:19], -0.5, v[80:81]
	v_add_f64 v[48:49], v[84:85], v[80:81]
	v_add_f64 v[56:57], v[86:87], -v[90:91]
	v_add_f64 v[101:102], v[36:37], v[28:29]
	v_fma_f64 v[26:27], v[22:23], s[0:1], v[10:11]
	v_add_f64 v[24:25], v[40:41], v[20:21]
	v_fma_f64 v[32:33], v[22:23], s[2:3], v[10:11]
	v_fma_f64 v[72:73], v[30:31], s[0:1], v[12:13]
	;; [unrolled: 1-line block ×3, first 2 shown]
	v_add_f64 v[20:21], v[88:89], v[48:49]
	v_fma_f64 v[22:23], v[56:57], s[0:1], v[34:35]
	v_fma_f64 v[28:29], v[56:57], s[2:3], v[34:35]
	v_mad_i32_i24 v10, v99, 24, 0
	ds_write2_b64 v10, v[24:25], v[26:27] offset1:1
	ds_write_b64 v10, v[32:33] offset:16
	v_mad_i32_i24 v10, v100, 24, 0
	v_cmp_gt_u32_e64 s[2:3], 34, v94
	ds_write2_b64 v10, v[101:102], v[72:73] offset1:1
	ds_write_b64 v10, v[18:19] offset:16
	s_and_saveexec_b64 s[0:1], s[2:3]
	s_cbranch_execz .LBB0_17
; %bb.16:
	v_add_u32_e32 v10, 0x1320, v95
	ds_write2_b64 v10, v[20:21], v[22:23] offset1:1
	ds_write_b64 v95, v[28:29] offset:4912
.LBB0_17:
	s_or_b64 exec, exec, s[0:1]
	v_mul_i32_i24_e32 v80, 24, v98
	v_mul_i32_i24_e32 v57, 24, v99
	;; [unrolled: 1-line block ×3, first 2 shown]
	v_cmp_gt_u32_e64 s[0:1], 42, v94
	s_waitcnt lgkmcnt(0)
	; wave barrier
	s_waitcnt lgkmcnt(0)
                                        ; implicit-def: $vgpr103_vgpr104
	s_and_saveexec_b64 s[6:7], s[0:1]
	s_cbranch_execz .LBB0_19
; %bb.18:
	v_lshlrev_b32_e32 v4, 4, v94
	v_sub_u32_e32 v48, v95, v4
	v_add_u32_e32 v16, 0x400, v48
	ds_read2_b64 v[4:7], v48 offset1:42
	ds_read2_b64 v[8:11], v48 offset0:84 offset1:126
	ds_read2_b64 v[12:15], v48 offset0:168 offset1:210
	ds_read2_b64 v[24:27], v16 offset0:124 offset1:166
	v_add_u32_e32 v16, 0x800, v48
	ds_read2_b64 v[32:35], v16 offset0:80 offset1:122
	ds_read2_b64 v[16:19], v16 offset0:164 offset1:206
	v_add_u32_e32 v20, 0xc00, v48
	v_add_u32_e32 v28, 0x1000, v48
	ds_read2_b64 v[20:23], v20 offset0:120 offset1:162
	ds_read2_b64 v[28:31], v28 offset0:76 offset1:118
	ds_read_b64 v[103:104], v48 offset:5376
	s_waitcnt lgkmcnt(0)
	v_mov_b32_e32 v73, v17
	v_mov_b32_e32 v72, v16
	;; [unrolled: 1-line block ×8, first 2 shown]
.LBB0_19:
	s_or_b64 exec, exec, s[6:7]
	v_add_f64 v[10:11], v[2:3], v[66:67]
	v_add_f64 v[34:35], v[70:71], v[78:79]
	;; [unrolled: 1-line block ×3, first 2 shown]
	v_add_f64 v[48:49], v[64:65], -v[0:1]
	v_add_f64 v[64:65], v[78:79], v[74:75]
	s_mov_b32 s6, 0xe8584caa
	s_mov_b32 s7, 0xbfebb67a
	;; [unrolled: 1-line block ×3, first 2 shown]
	v_fma_f64 v[10:11], v[10:11], -0.5, v[62:63]
	v_add_f64 v[62:63], v[76:77], -v[68:69]
	v_fma_f64 v[66:67], v[34:35], -0.5, v[74:75]
	v_add_f64 v[68:69], v[42:43], v[54:55]
	s_mov_b32 s8, s6
	v_add_f64 v[0:1], v[2:3], v[12:13]
	v_add_f64 v[12:13], v[70:71], v[64:65]
	;; [unrolled: 1-line block ×3, first 2 shown]
	v_fma_f64 v[2:3], v[48:49], s[6:7], v[10:11]
	v_fma_f64 v[10:11], v[48:49], s[8:9], v[10:11]
	;; [unrolled: 1-line block ×4, first 2 shown]
	v_add_f64 v[62:63], v[90:91], v[86:87]
	v_add_f64 v[54:55], v[54:55], v[58:59]
	v_fma_f64 v[58:59], v[68:69], -0.5, v[58:59]
	v_add_f64 v[40:41], v[52:53], -v[40:41]
	v_add_f64 v[46:47], v[46:47], v[50:51]
	v_fma_f64 v[50:51], v[64:65], -0.5, v[50:51]
	v_add_f64 v[36:37], v[44:45], -v[36:37]
	;; [unrolled: 3-line block ×3, first 2 shown]
	v_add_f64 v[42:43], v[42:43], v[54:55]
	v_fma_f64 v[44:45], v[40:41], s[6:7], v[58:59]
	v_fma_f64 v[54:55], v[40:41], s[8:9], v[58:59]
	v_add_f64 v[78:79], v[38:39], v[46:47]
	v_fma_f64 v[66:67], v[36:37], s[6:7], v[50:51]
	v_fma_f64 v[36:37], v[36:37], s[8:9], v[50:51]
	v_add_f64 v[38:39], v[90:91], v[52:53]
	v_fma_f64 v[40:41], v[64:65], s[6:7], v[62:63]
	v_fma_f64 v[50:51], v[64:65], s[8:9], v[62:63]
	v_add_u32_e32 v46, 0, v80
	s_waitcnt lgkmcnt(0)
	; wave barrier
	s_waitcnt lgkmcnt(0)
	ds_write2_b64 v95, v[0:1], v[2:3] offset1:1
	ds_write_b64 v95, v[10:11] offset:16
	ds_write2_b64 v46, v[12:13], v[34:35] offset1:1
	ds_write_b64 v46, v[48:49] offset:16
	v_add_u32_e32 v46, 0, v57
	ds_write2_b64 v46, v[42:43], v[44:45] offset1:1
	ds_write_b64 v46, v[54:55] offset:16
	v_add_u32_e32 v46, 0, v56
	ds_write2_b64 v46, v[78:79], v[66:67] offset1:1
	ds_write_b64 v46, v[36:37] offset:16
	s_and_saveexec_b64 s[6:7], s[2:3]
	s_cbranch_execz .LBB0_21
; %bb.20:
	v_add_u32_e32 v46, 0x1320, v95
	ds_write2_b64 v46, v[38:39], v[40:41] offset1:1
	ds_write_b64 v95, v[50:51] offset:4912
.LBB0_21:
	s_or_b64 exec, exec, s[6:7]
	v_lshl_add_u32 v117, v94, 3, 0
	s_waitcnt lgkmcnt(0)
	; wave barrier
	s_waitcnt lgkmcnt(0)
                                        ; implicit-def: $vgpr90_vgpr91
	s_and_saveexec_b64 s[2:3], s[0:1]
	s_cbranch_execz .LBB0_23
; %bb.22:
	v_add_u32_e32 v34, 0x400, v117
	ds_read2_b64 v[0:3], v117 offset1:42
	ds_read2_b64 v[10:13], v117 offset0:84 offset1:126
	ds_read2_b64 v[46:49], v117 offset0:168 offset1:210
	;; [unrolled: 1-line block ×3, first 2 shown]
	v_add_u32_e32 v34, 0x800, v117
	ds_read2_b64 v[54:57], v34 offset0:80 offset1:122
	ds_read2_b64 v[34:37], v34 offset0:164 offset1:206
	v_add_u32_e32 v38, 0xc00, v117
	v_add_u32_e32 v50, 0x1000, v117
	ds_read2_b64 v[38:41], v38 offset0:120 offset1:162
	ds_read2_b64 v[50:53], v50 offset0:76 offset1:118
	ds_read_b64 v[90:91], v117 offset:5376
	s_waitcnt lgkmcnt(3)
	v_mov_b32_e32 v67, v35
	v_mov_b32_e32 v66, v34
	;; [unrolled: 1-line block ×6, first 2 shown]
.LBB0_23:
	s_or_b64 exec, exec, s[2:3]
	s_movk_i32 s2, 0xab
	v_mul_lo_u16_sdwa v46, v94, s2 dst_sel:DWORD dst_unused:UNUSED_PAD src0_sel:BYTE_0 src1_sel:DWORD
	v_lshrrev_b16_e32 v95, 9, v46
	v_mul_lo_u16_e32 v46, 3, v95
	v_sub_u16_e32 v118, v94, v46
	v_mov_b32_e32 v46, 8
	v_lshlrev_b32_sdwa v46, v46, v118 dst_sel:DWORD dst_unused:UNUSED_PAD src0_sel:DWORD src1_sel:BYTE_0
	global_load_dwordx4 v[56:59], v46, s[12:13] offset:16
	global_load_dwordx4 v[62:65], v46, s[12:13] offset:64
	;; [unrolled: 1-line block ×8, first 2 shown]
	global_load_dwordx4 v[119:122], v46, s[12:13]
	global_load_dwordx4 v[123:126], v46, s[12:13] offset:144
	global_load_dwordx4 v[127:130], v46, s[12:13] offset:160
	;; [unrolled: 1-line block ×7, first 2 shown]
	s_waitcnt lgkmcnt(0)
	; wave barrier
	s_waitcnt vmcnt(15) lgkmcnt(0)
	v_mul_f64 v[46:47], v[10:11], v[58:59]
	v_mul_f64 v[58:59], v[8:9], v[58:59]
	s_waitcnt vmcnt(14)
	v_mul_f64 v[88:89], v[48:49], v[64:65]
	v_mul_f64 v[151:152], v[14:15], v[64:65]
	s_waitcnt vmcnt(13)
	;; [unrolled: 3-line block ×15, first 2 shown]
	v_mul_f64 v[179:180], v[90:91], v[149:150]
	v_mul_f64 v[149:150], v[103:104], v[149:150]
	v_fma_f64 v[80:81], v[8:9], v[56:57], -v[46:47]
	v_fma_f64 v[82:83], v[10:11], v[56:57], v[58:59]
	v_fma_f64 v[64:65], v[14:15], v[62:63], -v[88:89]
	v_fma_f64 v[62:63], v[48:49], v[62:63], v[151:152]
	v_fma_f64 v[58:59], v[24:25], v[68:69], -v[153:154]
	v_fma_f64 v[56:57], v[42:43], v[68:69], v[70:71]
	v_fma_f64 v[46:47], v[26:27], v[74:75], -v[155:156]
	v_fma_f64 v[44:45], v[44:45], v[74:75], v[76:77]
	v_fma_f64 v[32:33], v[32:33], v[84:85], -v[157:158]
	v_fma_f64 v[26:27], v[54:55], v[84:85], v[86:87]
	v_fma_f64 v[76:77], v[16:17], v[105:106], -v[159:160]
	v_fma_f64 v[74:75], v[12:13], v[105:106], v[107:108]
	v_fma_f64 v[70:71], v[60:61], v[109:110], -v[161:162]
	v_fma_f64 v[68:69], v[34:35], v[109:110], v[111:112]
	v_fma_f64 v[42:43], v[101:102], v[113:114], -v[163:164]
	v_fma_f64 v[34:35], v[78:79], v[113:114], v[115:116]
	v_fma_f64 v[54:55], v[72:73], v[123:124], -v[167:168]
	v_fma_f64 v[48:49], v[66:67], v[123:124], v[125:126]
	v_fma_f64 v[86:87], v[6:7], v[119:120], -v[165:166]
	v_fma_f64 v[88:89], v[2:3], v[119:120], v[121:122]
	v_fma_f64 v[60:61], v[18:19], v[127:128], -v[169:170]
	v_fma_f64 v[36:37], v[36:37], v[127:128], v[129:130]
	v_fma_f64 v[66:67], v[20:21], v[131:132], -v[171:172]
	v_fma_f64 v[38:39], v[38:39], v[131:132], v[133:134]
	v_fma_f64 v[72:73], v[22:23], v[135:136], -v[173:174]
	v_fma_f64 v[40:41], v[40:41], v[135:136], v[137:138]
	v_fma_f64 v[78:79], v[28:29], v[139:140], -v[175:176]
	v_fma_f64 v[28:29], v[50:51], v[139:140], v[141:142]
	v_fma_f64 v[84:85], v[30:31], v[143:144], -v[177:178]
	v_fma_f64 v[50:51], v[52:53], v[143:144], v[145:146]
	v_fma_f64 v[52:53], v[103:104], v[147:148], -v[179:180]
	v_fma_f64 v[30:31], v[90:91], v[147:148], v[149:150]
	s_and_saveexec_b64 s[2:3], s[0:1]
	s_cbranch_execz .LBB0_25
; %bb.24:
	v_add_f64 v[105:106], v[88:89], -v[30:31]
	s_mov_b32 s14, 0xacd6c6b4
	s_mov_b32 s15, 0xbfc7851a
	v_add_f64 v[101:102], v[82:83], -v[50:51]
	v_add_f64 v[90:91], v[86:87], v[52:53]
	s_mov_b32 s22, 0x5d8e7cdc
	s_mov_b32 s8, 0x7faef3
	;; [unrolled: 1-line block ×3, first 2 shown]
	v_mul_f64 v[107:108], v[105:106], s[14:15]
	s_mov_b32 s9, 0xbfef7484
	v_add_f64 v[103:104], v[74:75], -v[28:29]
	v_add_f64 v[24:25], v[80:81], v[84:85]
	v_mul_f64 v[109:110], v[101:102], s[22:23]
	s_mov_b32 s24, 0x4363dd80
	s_mov_b32 s16, 0x370991
	;; [unrolled: 1-line block ×3, first 2 shown]
	v_fma_f64 v[16:17], v[90:91], s[8:9], v[107:108]
	s_mov_b32 s17, 0x3fedd6d0
	v_add_f64 v[18:19], v[68:69], -v[40:41]
	v_add_f64 v[20:21], v[76:77], v[78:79]
	v_mul_f64 v[111:112], v[103:104], s[24:25]
	v_fma_f64 v[113:114], v[24:25], s[16:17], v[109:110]
	s_mov_b32 s48, 0x2a9d6da3
	s_mov_b32 s18, 0x910ea3b9
	v_add_f64 v[16:17], v[4:5], v[16:17]
	s_mov_b32 s49, 0x3fe58eea
	s_mov_b32 s19, 0xbfeb34fa
	v_add_f64 v[14:15], v[62:63], -v[38:39]
	v_add_f64 v[22:23], v[70:71], v[72:73]
	v_mul_f64 v[115:116], v[18:19], s[48:49]
	v_fma_f64 v[119:120], v[20:21], s[18:19], v[111:112]
	v_fma_f64 v[107:108], v[90:91], s[8:9], -v[107:108]
	v_add_f64 v[113:114], v[113:114], v[16:17]
	s_mov_b32 s26, 0x6c9a05f6
	s_mov_b32 s30, 0x75d4884
	;; [unrolled: 1-line block ×4, first 2 shown]
	v_add_f64 v[12:13], v[56:57], -v[36:37]
	v_add_f64 v[16:17], v[64:65], v[66:67]
	v_mul_f64 v[121:122], v[14:15], s[26:27]
	v_fma_f64 v[123:124], v[22:23], s[30:31], v[115:116]
	v_add_f64 v[113:114], v[119:120], v[113:114]
	v_fma_f64 v[109:110], v[24:25], s[16:17], -v[109:110]
	v_add_f64 v[107:108], v[4:5], v[107:108]
	s_mov_b32 s34, 0x7c9e640b
	s_mov_b32 s28, 0x6ed5f1bb
	;; [unrolled: 1-line block ×4, first 2 shown]
	v_add_f64 v[10:11], v[58:59], v[60:61]
	v_mul_f64 v[119:120], v[12:13], s[34:35]
	v_fma_f64 v[125:126], v[16:17], s[28:29], v[121:122]
	v_add_f64 v[113:114], v[123:124], v[113:114]
	v_mul_f64 v[123:124], v[105:106], s[24:25]
	v_fma_f64 v[111:112], v[20:21], s[18:19], -v[111:112]
	v_add_f64 v[107:108], v[109:110], v[107:108]
	s_mov_b32 s36, 0x2b2883cd
	s_mov_b32 s37, 0x3fdc86fa
	v_add_f64 v[8:9], v[44:45], -v[48:49]
	v_fma_f64 v[127:128], v[10:11], s[36:37], v[119:120]
	v_add_f64 v[113:114], v[125:126], v[113:114]
	v_mul_f64 v[125:126], v[101:102], s[34:35]
	v_fma_f64 v[129:130], v[90:91], s[18:19], v[123:124]
	v_fma_f64 v[115:116], v[22:23], s[30:31], -v[115:116]
	v_add_f64 v[107:108], v[111:112], v[107:108]
	s_mov_b32 s46, 0xeb564b22
	s_mov_b32 s38, 0x923c349f
	;; [unrolled: 1-line block ×6, first 2 shown]
	v_add_f64 v[2:3], v[46:47], v[54:55]
	v_mul_f64 v[109:110], v[8:9], s[38:39]
	v_add_f64 v[113:114], v[127:128], v[113:114]
	v_fma_f64 v[111:112], v[24:25], s[36:37], v[125:126]
	v_add_f64 v[127:128], v[4:5], v[129:130]
	v_mul_f64 v[129:130], v[103:104], s[42:43]
	v_fma_f64 v[121:122], v[16:17], s[28:29], -v[121:122]
	v_add_f64 v[107:108], v[115:116], v[107:108]
	s_mov_b32 s6, 0x3259b75e
	s_mov_b32 s40, 0xc61f0d01
	;; [unrolled: 1-line block ×6, first 2 shown]
	v_fma_f64 v[131:132], v[2:3], s[40:41], v[109:110]
	v_mul_f64 v[115:116], v[18:19], s[54:55]
	v_add_f64 v[111:112], v[111:112], v[127:128]
	v_fma_f64 v[127:128], v[20:21], s[6:7], v[129:130]
	v_fma_f64 v[119:120], v[10:11], s[36:37], -v[119:120]
	v_fma_f64 v[123:124], v[90:91], s[18:19], -v[123:124]
	v_add_f64 v[121:122], v[121:122], v[107:108]
	s_mov_b32 s45, 0xbfd71e95
	s_mov_b32 s44, s22
	v_add_f64 v[6:7], v[26:27], -v[34:35]
	v_add_f64 v[113:114], v[131:132], v[113:114]
	v_fma_f64 v[131:132], v[22:23], s[28:29], v[115:116]
	v_add_f64 v[111:112], v[127:128], v[111:112]
	v_mul_f64 v[127:128], v[14:15], s[44:45]
	v_fma_f64 v[125:126], v[24:25], s[36:37], -v[125:126]
	v_add_f64 v[123:124], v[4:5], v[123:124]
	v_fma_f64 v[109:110], v[2:3], s[40:41], -v[109:110]
	v_add_f64 v[119:120], v[119:120], v[121:122]
	v_mul_f64 v[133:134], v[105:106], s[26:27]
	s_mov_b32 s51, 0x3feec746
	s_mov_b32 s50, s38
	v_add_f64 v[107:108], v[32:33], v[42:43]
	v_mul_f64 v[121:122], v[6:7], s[46:47]
	v_add_f64 v[111:112], v[131:132], v[111:112]
	v_fma_f64 v[131:132], v[16:17], s[16:17], v[127:128]
	v_fma_f64 v[129:130], v[20:21], s[6:7], -v[129:130]
	v_add_f64 v[123:124], v[125:126], v[123:124]
	v_add_f64 v[119:120], v[109:110], v[119:120]
	v_mul_f64 v[109:110], v[101:102], s[50:51]
	v_fma_f64 v[135:136], v[90:91], s[28:29], v[133:134]
	v_mul_f64 v[125:126], v[12:13], s[14:15]
	v_fma_f64 v[137:138], v[107:108], s[6:7], v[121:122]
	v_add_f64 v[131:132], v[131:132], v[111:112]
	v_fma_f64 v[111:112], v[90:91], s[28:29], -v[133:134]
	v_add_f64 v[123:124], v[129:130], v[123:124]
	v_mul_f64 v[139:140], v[103:104], s[44:45]
	v_fma_f64 v[129:130], v[24:25], s[40:41], v[109:110]
	v_add_f64 v[135:136], v[4:5], v[135:136]
	v_fma_f64 v[121:122], v[107:108], s[6:7], -v[121:122]
	v_fma_f64 v[115:116], v[22:23], s[28:29], -v[115:116]
	;; [unrolled: 1-line block ×3, first 2 shown]
	v_add_f64 v[111:112], v[4:5], v[111:112]
	v_fma_f64 v[143:144], v[10:11], s[8:9], v[125:126]
	v_add_f64 v[109:110], v[137:138], v[113:114]
	v_fma_f64 v[113:114], v[16:17], s[16:17], -v[127:128]
	v_add_f64 v[127:128], v[129:130], v[135:136]
	v_fma_f64 v[129:130], v[20:21], s[16:17], v[139:140]
	v_mul_f64 v[135:136], v[18:19], s[24:25]
	v_mul_f64 v[133:134], v[8:9], s[48:49]
	v_add_f64 v[115:116], v[115:116], v[123:124]
	v_add_f64 v[123:124], v[141:142], v[111:112]
	v_fma_f64 v[137:138], v[20:21], s[16:17], -v[139:140]
	v_add_f64 v[111:112], v[121:122], v[119:120]
	v_add_f64 v[121:122], v[143:144], v[131:132]
	;; [unrolled: 1-line block ×3, first 2 shown]
	v_fma_f64 v[129:130], v[22:23], s[18:19], v[135:136]
	v_mul_f64 v[131:132], v[14:15], s[46:47]
	s_mov_b32 s53, 0xbfe58eea
	s_mov_b32 s52, s48
	v_fma_f64 v[119:120], v[2:3], s[30:31], v[133:134]
	v_add_f64 v[113:114], v[113:114], v[115:116]
	v_add_f64 v[115:116], v[137:138], v[123:124]
	v_fma_f64 v[123:124], v[22:23], s[18:19], -v[135:136]
	v_add_f64 v[127:128], v[129:130], v[127:128]
	v_fma_f64 v[129:130], v[16:17], s[6:7], v[131:132]
	v_mul_f64 v[135:136], v[12:13], s[52:53]
	v_fma_f64 v[125:126], v[10:11], s[8:9], -v[125:126]
	v_add_f64 v[119:120], v[119:120], v[121:122]
	v_fma_f64 v[121:122], v[16:17], s[6:7], -v[131:132]
	s_mov_b32 s57, 0x3fe0d888
	v_add_f64 v[115:116], v[123:124], v[115:116]
	v_fma_f64 v[123:124], v[2:3], s[30:31], -v[133:134]
	v_add_f64 v[127:128], v[129:130], v[127:128]
	v_fma_f64 v[129:130], v[10:11], s[30:31], v[135:136]
	v_mul_f64 v[133:134], v[105:106], s[38:39]
	s_mov_b32 s56, s24
	v_add_f64 v[113:114], v[125:126], v[113:114]
	v_mul_f64 v[125:126], v[6:7], s[38:39]
	v_fma_f64 v[131:132], v[10:11], s[30:31], -v[135:136]
	v_add_f64 v[115:116], v[121:122], v[115:116]
	v_mul_f64 v[121:122], v[8:9], s[14:15]
	v_mul_f64 v[135:136], v[101:102], s[56:57]
	v_fma_f64 v[137:138], v[90:91], s[40:41], v[133:134]
	v_add_f64 v[127:128], v[129:130], v[127:128]
	v_fma_f64 v[129:130], v[90:91], s[40:41], -v[133:134]
	v_add_f64 v[123:124], v[123:124], v[113:114]
	v_fma_f64 v[113:114], v[107:108], s[40:41], v[125:126]
	v_fma_f64 v[125:126], v[107:108], s[40:41], -v[125:126]
	v_add_f64 v[131:132], v[131:132], v[115:116]
	v_fma_f64 v[139:140], v[2:3], s[8:9], v[121:122]
	v_fma_f64 v[115:116], v[24:25], s[18:19], v[135:136]
	v_add_f64 v[137:138], v[4:5], v[137:138]
	v_mul_f64 v[141:142], v[103:104], s[48:49]
	v_fma_f64 v[135:136], v[24:25], s[18:19], -v[135:136]
	v_add_f64 v[129:130], v[4:5], v[129:130]
	s_mov_b32 s59, 0xbfeca52d
	s_mov_b32 s58, s34
	v_mul_f64 v[133:134], v[6:7], s[34:35]
	v_fma_f64 v[121:122], v[2:3], s[8:9], -v[121:122]
	v_add_f64 v[113:114], v[113:114], v[119:120]
	v_add_f64 v[119:120], v[115:116], v[137:138]
	v_fma_f64 v[137:138], v[20:21], s[30:31], v[141:142]
	v_mul_f64 v[143:144], v[18:19], s[58:59]
	v_add_f64 v[129:130], v[135:136], v[129:130]
	v_fma_f64 v[135:136], v[20:21], s[30:31], -v[141:142]
	v_add_f64 v[115:116], v[125:126], v[123:124]
	v_add_f64 v[125:126], v[139:140], v[127:128]
	v_mul_f64 v[127:128], v[105:106], s[42:43]
	v_fma_f64 v[123:124], v[107:108], s[36:37], v[133:134]
	v_add_f64 v[119:120], v[137:138], v[119:120]
	v_fma_f64 v[137:138], v[22:23], s[36:37], v[143:144]
	v_mul_f64 v[139:140], v[14:15], s[14:15]
	v_add_f64 v[129:130], v[135:136], v[129:130]
	v_fma_f64 v[135:136], v[22:23], s[36:37], -v[143:144]
	v_add_f64 v[121:122], v[121:122], v[131:132]
	v_fma_f64 v[131:132], v[90:91], s[6:7], v[127:128]
	v_mul_f64 v[141:142], v[101:102], s[14:15]
	v_fma_f64 v[133:134], v[107:108], s[36:37], -v[133:134]
	v_add_f64 v[119:120], v[137:138], v[119:120]
	v_fma_f64 v[137:138], v[16:17], s[8:9], v[139:140]
	v_mul_f64 v[143:144], v[12:13], s[46:47]
	v_add_f64 v[129:130], v[135:136], v[129:130]
	v_fma_f64 v[135:136], v[16:17], s[8:9], -v[139:140]
	v_add_f64 v[123:124], v[123:124], v[125:126]
	v_add_f64 v[125:126], v[4:5], v[131:132]
	v_fma_f64 v[131:132], v[24:25], s[8:9], v[141:142]
	v_mul_f64 v[139:140], v[103:104], s[50:51]
	v_add_f64 v[119:120], v[137:138], v[119:120]
	v_fma_f64 v[137:138], v[10:11], s[6:7], v[143:144]
	v_mul_f64 v[145:146], v[8:9], s[44:45]
	v_add_f64 v[121:122], v[133:134], v[121:122]
	v_mul_f64 v[133:134], v[18:19], s[22:23]
	v_fma_f64 v[127:128], v[90:91], s[6:7], -v[127:128]
	v_add_f64 v[125:126], v[131:132], v[125:126]
	v_fma_f64 v[131:132], v[20:21], s[40:41], v[139:140]
	v_add_f64 v[129:130], v[135:136], v[129:130]
	v_fma_f64 v[135:136], v[10:11], s[6:7], -v[143:144]
	v_add_f64 v[119:120], v[137:138], v[119:120]
	v_fma_f64 v[137:138], v[2:3], s[16:17], v[145:146]
	v_mul_f64 v[147:148], v[14:15], s[58:59]
	v_fma_f64 v[141:142], v[24:25], s[8:9], -v[141:142]
	v_add_f64 v[127:128], v[4:5], v[127:128]
	v_add_f64 v[125:126], v[131:132], v[125:126]
	v_fma_f64 v[131:132], v[22:23], s[16:17], v[133:134]
	v_add_f64 v[129:130], v[135:136], v[129:130]
	v_mul_f64 v[135:136], v[105:106], s[58:59]
	v_add_f64 v[119:120], v[137:138], v[119:120]
	v_mul_f64 v[137:138], v[12:13], s[24:25]
	v_fma_f64 v[139:140], v[20:21], s[40:41], -v[139:140]
	v_add_f64 v[127:128], v[141:142], v[127:128]
	v_mul_f64 v[151:152], v[101:102], s[26:27]
	v_add_f64 v[125:126], v[131:132], v[125:126]
	v_fma_f64 v[131:132], v[16:17], s[36:37], v[147:148]
	v_fma_f64 v[149:150], v[90:91], s[36:37], v[135:136]
	v_fma_f64 v[133:134], v[22:23], s[16:17], -v[133:134]
	s_mov_b32 s47, 0x3fc7851a
	s_mov_b32 s46, s14
	v_add_f64 v[127:128], v[139:140], v[127:128]
	v_mul_f64 v[153:154], v[103:104], s[46:47]
	v_fma_f64 v[145:146], v[2:3], s[16:17], -v[145:146]
	v_add_f64 v[125:126], v[131:132], v[125:126]
	v_fma_f64 v[131:132], v[10:11], s[18:19], v[137:138]
	v_add_f64 v[141:142], v[4:5], v[149:150]
	v_fma_f64 v[149:150], v[24:25], s[28:29], v[151:152]
	v_mul_f64 v[139:140], v[8:9], s[54:55]
	v_add_f64 v[127:128], v[133:134], v[127:128]
	v_mul_f64 v[157:158], v[18:19], s[50:51]
	v_add_f64 v[129:130], v[145:146], v[129:130]
	;; [unrolled: 2-line block ×3, first 2 shown]
	v_fma_f64 v[131:132], v[16:17], s[36:37], -v[147:148]
	v_add_f64 v[141:142], v[149:150], v[141:142]
	v_fma_f64 v[149:150], v[20:21], s[8:9], v[153:154]
	v_fma_f64 v[133:134], v[2:3], s[28:29], v[139:140]
	;; [unrolled: 1-line block ×3, first 2 shown]
	v_mul_f64 v[147:148], v[14:15], s[48:49]
	v_fma_f64 v[135:136], v[90:91], s[36:37], -v[135:136]
	v_fma_f64 v[155:156], v[107:108], s[28:29], v[143:144]
	v_add_f64 v[127:128], v[131:132], v[127:128]
	v_fma_f64 v[131:132], v[10:11], s[18:19], -v[137:138]
	v_add_f64 v[141:142], v[149:150], v[141:142]
	v_add_f64 v[125:126], v[133:134], v[125:126]
	v_fma_f64 v[143:144], v[107:108], s[28:29], -v[143:144]
	v_fma_f64 v[137:138], v[16:17], s[30:31], v[147:148]
	v_mul_f64 v[149:150], v[6:7], s[48:49]
	v_add_f64 v[135:136], v[4:5], v[135:136]
	v_fma_f64 v[139:140], v[2:3], s[28:29], -v[139:140]
	v_add_f64 v[127:128], v[131:132], v[127:128]
	v_add_f64 v[131:132], v[4:5], v[86:87]
	;; [unrolled: 1-line block ×3, first 2 shown]
	v_mul_f64 v[141:142], v[12:13], s[44:45]
	v_fma_f64 v[145:146], v[24:25], s[28:29], -v[151:152]
	v_add_f64 v[119:120], v[155:156], v[119:120]
	v_fma_f64 v[151:152], v[107:108], s[30:31], v[149:150]
	v_add_f64 v[129:130], v[143:144], v[129:130]
	v_add_f64 v[127:128], v[139:140], v[127:128]
	;; [unrolled: 1-line block ×4, first 2 shown]
	v_mul_f64 v[137:138], v[105:106], s[52:53]
	v_fma_f64 v[155:156], v[10:11], s[16:17], v[141:142]
	v_add_f64 v[135:136], v[145:146], v[135:136]
	v_fma_f64 v[145:146], v[20:21], s[8:9], -v[153:154]
	v_mul_f64 v[143:144], v[101:102], s[42:43]
	v_add_f64 v[125:126], v[151:152], v[125:126]
	v_add_f64 v[131:132], v[131:132], v[76:77]
	v_mul_f64 v[151:152], v[8:9], s[42:43]
	v_fma_f64 v[139:140], v[90:91], s[30:31], v[137:138]
	v_fma_f64 v[137:138], v[90:91], s[30:31], -v[137:138]
	v_add_f64 v[133:134], v[155:156], v[133:134]
	v_add_f64 v[135:136], v[145:146], v[135:136]
	v_fma_f64 v[145:146], v[22:23], s[40:41], -v[157:158]
	v_fma_f64 v[153:154], v[24:25], s[6:7], v[143:144]
	v_add_f64 v[131:132], v[131:132], v[70:71]
	v_mul_f64 v[155:156], v[103:104], s[26:27]
	v_add_f64 v[139:140], v[4:5], v[139:140]
	v_fma_f64 v[143:144], v[24:25], s[6:7], -v[143:144]
	v_add_f64 v[137:138], v[4:5], v[137:138]
	v_mul_f64 v[157:158], v[18:19], s[14:15]
	v_add_f64 v[135:136], v[145:146], v[135:136]
	v_fma_f64 v[145:146], v[16:17], s[30:31], -v[147:148]
	v_add_f64 v[131:132], v[131:132], v[64:65]
	v_fma_f64 v[147:148], v[2:3], s[6:7], v[151:152]
	v_add_f64 v[139:140], v[153:154], v[139:140]
	v_fma_f64 v[153:154], v[20:21], s[28:29], v[155:156]
	v_add_f64 v[137:138], v[143:144], v[137:138]
	v_fma_f64 v[143:144], v[20:21], s[28:29], -v[155:156]
	v_mul_f64 v[105:106], v[105:106], s[44:45]
	v_add_f64 v[135:136], v[145:146], v[135:136]
	v_add_f64 v[131:132], v[131:132], v[58:59]
	;; [unrolled: 1-line block ×3, first 2 shown]
	v_fma_f64 v[145:146], v[22:23], s[8:9], v[157:158]
	v_add_f64 v[139:140], v[153:154], v[139:140]
	v_mul_f64 v[147:148], v[14:15], s[56:57]
	v_add_f64 v[137:138], v[143:144], v[137:138]
	v_fma_f64 v[143:144], v[22:23], s[8:9], -v[157:158]
	v_fma_f64 v[141:142], v[10:11], s[16:17], -v[141:142]
	v_add_f64 v[131:132], v[131:132], v[46:47]
	v_mul_f64 v[101:102], v[101:102], s[52:53]
	v_mul_f64 v[103:104], v[103:104], s[58:59]
	v_add_f64 v[139:140], v[145:146], v[139:140]
	v_fma_f64 v[145:146], v[16:17], s[18:19], v[147:148]
	v_fma_f64 v[147:148], v[16:17], s[18:19], -v[147:148]
	v_add_f64 v[137:138], v[143:144], v[137:138]
	v_fma_f64 v[143:144], v[90:91], s[16:17], -v[105:106]
	v_fma_f64 v[90:91], v[90:91], s[16:17], v[105:106]
	v_add_f64 v[131:132], v[131:132], v[32:33]
	v_add_f64 v[135:136], v[141:142], v[135:136]
	v_fma_f64 v[141:142], v[2:3], s[6:7], -v[151:152]
	v_mul_f64 v[151:152], v[12:13], s[50:51]
	v_add_f64 v[105:106], v[145:146], v[139:140]
	v_fma_f64 v[145:146], v[24:25], s[30:31], -v[101:102]
	v_add_f64 v[143:144], v[4:5], v[143:144]
	v_add_f64 v[4:5], v[4:5], v[90:91]
	v_fma_f64 v[24:25], v[24:25], s[30:31], v[101:102]
	v_add_f64 v[90:91], v[131:132], v[42:43]
	v_add_f64 v[137:138], v[147:148], v[137:138]
	v_fma_f64 v[101:102], v[10:11], s[40:41], -v[151:152]
	v_fma_f64 v[131:132], v[20:21], s[36:37], -v[103:104]
	v_mul_f64 v[18:19], v[18:19], s[42:43]
	v_add_f64 v[143:144], v[145:146], v[143:144]
	v_fma_f64 v[20:21], v[20:21], s[36:37], v[103:104]
	v_add_f64 v[4:5], v[24:25], v[4:5]
	v_add_f64 v[24:25], v[90:91], v[54:55]
	v_mul_f64 v[14:15], v[14:15], s[38:39]
	v_add_f64 v[90:91], v[101:102], v[137:138]
	v_mul_f64 v[12:13], v[12:13], s[26:27]
	v_fma_f64 v[101:102], v[22:23], s[6:7], -v[18:19]
	v_add_f64 v[103:104], v[131:132], v[143:144]
	v_fma_f64 v[18:19], v[22:23], s[6:7], v[18:19]
	v_add_f64 v[4:5], v[20:21], v[4:5]
	v_add_f64 v[24:25], v[24:25], v[60:61]
	v_fma_f64 v[139:140], v[10:11], s[40:41], v[151:152]
	v_mul_f64 v[22:23], v[6:7], s[24:25]
	v_add_f64 v[135:136], v[141:142], v[135:136]
	v_fma_f64 v[20:21], v[107:108], s[30:31], -v[149:150]
	v_add_f64 v[101:102], v[101:102], v[103:104]
	v_fma_f64 v[103:104], v[16:17], s[40:41], -v[14:15]
	v_fma_f64 v[14:15], v[16:17], s[40:41], v[14:15]
	v_add_f64 v[24:25], v[24:25], v[66:67]
	v_add_f64 v[4:5], v[18:19], v[4:5]
	v_mul_f64 v[18:19], v[8:9], s[34:35]
	v_mul_f64 v[8:9], v[8:9], s[24:25]
	v_add_f64 v[105:106], v[139:140], v[105:106]
	v_fma_f64 v[16:17], v[107:108], s[18:19], v[22:23]
	v_add_f64 v[101:102], v[103:104], v[101:102]
	v_fma_f64 v[103:104], v[10:11], s[28:29], -v[12:13]
	v_fma_f64 v[10:11], v[10:11], s[28:29], v[12:13]
	v_add_f64 v[12:13], v[24:25], v[72:73]
	v_add_f64 v[4:5], v[14:15], v[4:5]
	v_mul_f64 v[24:25], v[6:7], s[22:23]
	v_fma_f64 v[14:15], v[2:3], s[36:37], v[18:19]
	v_mul_f64 v[6:7], v[6:7], s[14:15]
	v_fma_f64 v[18:19], v[2:3], s[36:37], -v[18:19]
	v_add_f64 v[101:102], v[103:104], v[101:102]
	v_fma_f64 v[103:104], v[2:3], s[18:19], -v[8:9]
	v_add_f64 v[12:13], v[12:13], v[78:79]
	v_fma_f64 v[2:3], v[2:3], s[18:19], v[8:9]
	v_add_f64 v[4:5], v[10:11], v[4:5]
	v_fma_f64 v[22:23], v[107:108], s[18:19], -v[22:23]
	v_fma_f64 v[8:9], v[107:108], s[16:17], v[24:25]
	v_add_f64 v[10:11], v[14:15], v[105:106]
	v_fma_f64 v[14:15], v[107:108], s[16:17], -v[24:25]
	v_fma_f64 v[24:25], v[107:108], s[8:9], -v[6:7]
	v_add_f64 v[101:102], v[103:104], v[101:102]
	v_add_f64 v[12:13], v[12:13], v[84:85]
	;; [unrolled: 1-line block ×3, first 2 shown]
	v_fma_f64 v[6:7], v[107:108], s[8:9], v[6:7]
	v_add_f64 v[2:3], v[2:3], v[4:5]
	v_add_f64 v[4:5], v[20:21], v[127:128]
	;; [unrolled: 1-line block ×9, first 2 shown]
	v_mov_b32_e32 v7, 3
	v_mul_u32_u24_e32 v6, 0x198, v95
	v_lshlrev_b32_sdwa v7, v7, v118 dst_sel:DWORD dst_unused:UNUSED_PAD src0_sel:DWORD src1_sel:BYTE_0
	v_add3_u32 v6, 0, v6, v7
	ds_write2_b64 v6, v[12:13], v[22:23] offset1:3
	ds_write2_b64 v6, v[14:15], v[20:21] offset0:6 offset1:9
	ds_write2_b64 v6, v[4:5], v[129:130] offset0:12 offset1:15
	;; [unrolled: 1-line block ×7, first 2 shown]
	ds_write_b64 v6, v[2:3] offset:384
.LBB0_25:
	s_or_b64 exec, exec, s[2:3]
	v_lshl_add_u32 v103, v99, 3, 0
	v_add_u32_e32 v105, 0x800, v117
	v_add_u32_e32 v106, 0xc00, v117
	;; [unrolled: 1-line block ×3, first 2 shown]
	s_waitcnt lgkmcnt(0)
	; wave barrier
	s_waitcnt lgkmcnt(0)
	ds_read2_b64 v[6:9], v117 offset1:153
	ds_read2_b64 v[18:21], v117 offset0:204 offset1:255
	ds_read2_b64 v[22:25], v105 offset0:50 offset1:101
	;; [unrolled: 1-line block ×5, first 2 shown]
	v_lshl_add_u32 v104, v98, 3, 0
	ds_read_b64 v[101:102], v103
	ds_read_b64 v[90:91], v104
	s_waitcnt lgkmcnt(0)
	; wave barrier
	s_waitcnt lgkmcnt(0)
	s_and_saveexec_b64 s[2:3], s[0:1]
	s_cbranch_execz .LBB0_27
; %bb.26:
	v_add_f64 v[108:109], v[0:1], v[88:89]
	v_add_f64 v[52:53], v[86:87], -v[52:53]
	v_add_f64 v[80:81], v[80:81], -v[84:85]
	s_mov_b32 s26, 0x5d8e7cdc
	s_mov_b32 s40, 0x2a9d6da3
	;; [unrolled: 1-line block ×5, first 2 shown]
	v_add_f64 v[86:87], v[108:109], v[82:83]
	s_mov_b32 s41, 0xbfe58eea
	s_mov_b32 s45, 0xbfeca52d
	;; [unrolled: 1-line block ×3, first 2 shown]
	v_add_f64 v[88:89], v[88:89], v[30:31]
	v_mul_f64 v[108:109], v[52:53], s[40:41]
	v_mul_f64 v[110:111], v[52:53], s[44:45]
	;; [unrolled: 1-line block ×3, first 2 shown]
	v_add_f64 v[86:87], v[86:87], v[74:75]
	s_mov_b32 s6, 0x370991
	s_mov_b32 s8, 0x75d4884
	;; [unrolled: 1-line block ×7, first 2 shown]
	v_add_f64 v[86:87], v[86:87], v[68:69]
	s_mov_b32 s38, 0xacd6c6b4
	s_mov_b32 s7, 0x3fedd6d0
	;; [unrolled: 1-line block ×7, first 2 shown]
	v_add_f64 v[86:87], v[86:87], v[62:63]
	s_mov_b32 s31, 0xbfe0d888
	s_mov_b32 s39, 0xbfc7851a
	v_add_f64 v[82:83], v[82:83], v[50:51]
	v_mul_f64 v[114:115], v[52:53], s[18:19]
	v_mul_f64 v[119:120], v[52:53], s[24:25]
	;; [unrolled: 1-line block ×4, first 2 shown]
	v_add_f64 v[86:87], v[86:87], v[56:57]
	v_mul_f64 v[125:126], v[80:81], s[36:37]
	v_mul_f64 v[127:128], v[80:81], s[24:25]
	;; [unrolled: 1-line block ×3, first 2 shown]
	v_fma_f64 v[139:140], v[88:89], s[8:9], v[108:109]
	v_fma_f64 v[108:109], v[88:89], s[8:9], -v[108:109]
	v_fma_f64 v[141:142], v[88:89], s[0:1], v[110:111]
	v_fma_f64 v[110:111], v[88:89], s[0:1], -v[110:111]
	v_add_f64 v[84:85], v[86:87], v[44:45]
	v_mul_f64 v[86:87], v[52:53], s[26:27]
	v_mul_f64 v[52:53], v[52:53], s[38:39]
	v_fma_f64 v[143:144], v[88:89], s[14:15], v[112:113]
	v_fma_f64 v[112:113], v[88:89], s[14:15], -v[112:113]
	s_mov_b32 s16, 0xc61f0d01
	s_mov_b32 s22, 0x6ed5f1bb
	;; [unrolled: 1-line block ×3, first 2 shown]
	v_add_f64 v[84:85], v[84:85], v[26:27]
	v_fma_f64 v[137:138], v[88:89], s[6:7], v[86:87]
	s_mov_b32 s34, 0x7faef3
	s_mov_b32 s17, 0xbfd183b1
	;; [unrolled: 1-line block ×6, first 2 shown]
	v_add_f64 v[84:85], v[84:85], v[34:35]
	s_mov_b32 s51, 0x3feec746
	s_mov_b32 s43, 0x3feca52d
	;; [unrolled: 1-line block ×5, first 2 shown]
	v_mul_f64 v[131:132], v[80:81], s[52:53]
	v_mul_f64 v[133:134], v[80:81], s[50:51]
	v_add_f64 v[84:85], v[84:85], v[48:49]
	v_mul_f64 v[135:136], v[80:81], s[42:43]
	v_fma_f64 v[86:87], v[88:89], s[6:7], -v[86:87]
	v_fma_f64 v[145:146], v[88:89], s[16:17], v[114:115]
	v_fma_f64 v[114:115], v[88:89], s[16:17], -v[114:115]
	v_fma_f64 v[147:148], v[88:89], s[22:23], v[119:120]
	;; [unrolled: 2-line block ×3, first 2 shown]
	v_add_f64 v[84:85], v[84:85], v[36:37]
	v_fma_f64 v[121:122], v[88:89], s[28:29], -v[121:122]
	v_fma_f64 v[151:152], v[88:89], s[34:35], v[52:53]
	v_fma_f64 v[52:53], v[88:89], s[34:35], -v[52:53]
	v_fma_f64 v[88:89], v[82:83], s[8:9], v[123:124]
	v_fma_f64 v[153:154], v[82:83], s[14:15], v[125:126]
	v_fma_f64 v[125:126], v[82:83], s[14:15], -v[125:126]
	v_fma_f64 v[155:156], v[82:83], s[22:23], v[127:128]
	v_add_f64 v[84:85], v[84:85], v[38:39]
	v_fma_f64 v[127:128], v[82:83], s[22:23], -v[127:128]
	v_fma_f64 v[157:158], v[82:83], s[34:35], v[129:130]
	v_fma_f64 v[129:130], v[82:83], s[34:35], -v[129:130]
	v_add_f64 v[137:138], v[0:1], v[137:138]
	v_add_f64 v[108:109], v[0:1], v[108:109]
	;; [unrolled: 1-line block ×5, first 2 shown]
	v_add_f64 v[76:77], v[76:77], -v[78:79]
	s_mov_b32 s47, 0x3fd71e95
	s_mov_b32 s46, s26
	v_add_f64 v[86:87], v[0:1], v[86:87]
	v_add_f64 v[139:140], v[0:1], v[139:140]
	;; [unrolled: 1-line block ×17, first 2 shown]
	v_fma_f64 v[125:126], v[82:83], s[28:29], -v[131:132]
	v_fma_f64 v[127:128], v[82:83], s[16:17], -v[133:134]
	v_mul_f64 v[80:81], v[80:81], s[46:47]
	v_add_f64 v[30:31], v[50:51], v[30:31]
	v_add_f64 v[50:51], v[129:130], v[112:113]
	v_fma_f64 v[129:130], v[82:83], s[0:1], v[135:136]
	v_add_f64 v[28:29], v[74:75], v[28:29]
	v_mul_f64 v[74:75], v[76:77], s[44:45]
	v_fma_f64 v[123:124], v[82:83], s[8:9], -v[123:124]
	v_fma_f64 v[159:160], v[82:83], s[28:29], v[131:132]
	v_fma_f64 v[78:79], v[82:83], s[16:17], v[133:134]
	v_fma_f64 v[131:132], v[82:83], s[0:1], -v[135:136]
	v_add_f64 v[114:115], v[125:126], v[114:115]
	v_add_f64 v[119:120], v[127:128], v[119:120]
	;; [unrolled: 1-line block ×3, first 2 shown]
	v_fma_f64 v[127:128], v[82:83], s[6:7], v[80:81]
	v_fma_f64 v[80:81], v[82:83], s[6:7], -v[80:81]
	v_fma_f64 v[82:83], v[28:29], s[0:1], v[74:75]
	v_mul_f64 v[129:130], v[76:77], s[24:25]
	s_mov_b32 s49, 0x3fc7851a
	s_mov_b32 s48, s38
	v_add_f64 v[84:85], v[123:124], v[86:87]
	v_add_f64 v[86:87], v[153:154], v[139:140]
	v_add_f64 v[121:122], v[131:132], v[121:122]
	v_mul_f64 v[131:132], v[76:77], s[48:49]
	v_add_f64 v[0:1], v[80:81], v[0:1]
	v_add_f64 v[52:53], v[82:83], v[52:53]
	v_fma_f64 v[74:75], v[28:29], s[0:1], -v[74:75]
	v_fma_f64 v[80:81], v[28:29], s[22:23], v[129:130]
	v_mul_f64 v[82:83], v[76:77], s[50:51]
	v_fma_f64 v[129:130], v[28:29], s[22:23], -v[129:130]
	s_mov_b32 s49, 0x3fe58eea
	s_mov_b32 s48, s40
	v_add_f64 v[108:109], v[155:156], v[141:142]
	v_add_f64 v[123:124], v[157:158], v[143:144]
	v_fma_f64 v[133:134], v[28:29], s[34:35], v[131:132]
	v_mul_f64 v[135:136], v[76:77], s[48:49]
	v_add_f64 v[74:75], v[74:75], v[84:85]
	v_fma_f64 v[84:85], v[28:29], s[34:35], -v[131:132]
	v_fma_f64 v[131:132], v[28:29], s[16:17], v[82:83]
	v_add_f64 v[80:81], v[80:81], v[86:87]
	v_add_f64 v[86:87], v[129:130], v[88:89]
	v_fma_f64 v[82:83], v[28:29], s[16:17], -v[82:83]
	v_mul_f64 v[129:130], v[76:77], s[26:27]
	v_add_f64 v[112:113], v[159:160], v[145:146]
	v_add_f64 v[78:79], v[78:79], v[147:148]
	;; [unrolled: 1-line block ×3, first 2 shown]
	v_fma_f64 v[108:109], v[28:29], s[8:9], v[135:136]
	v_add_f64 v[84:85], v[84:85], v[110:111]
	v_add_f64 v[110:111], v[131:132], v[123:124]
	v_mul_f64 v[123:124], v[76:77], s[36:37]
	v_add_f64 v[50:51], v[82:83], v[50:51]
	v_add_f64 v[70:71], v[70:71], -v[72:73]
	v_fma_f64 v[82:83], v[28:29], s[6:7], v[129:130]
	v_mul_f64 v[76:77], v[76:77], s[30:31]
	v_fma_f64 v[131:132], v[28:29], s[8:9], -v[135:136]
	v_add_f64 v[72:73], v[108:109], v[112:113]
	v_fma_f64 v[108:109], v[28:29], s[6:7], -v[129:130]
	v_fma_f64 v[112:113], v[28:29], s[14:15], v[123:124]
	v_add_f64 v[40:41], v[68:69], v[40:41]
	v_mul_f64 v[68:69], v[70:71], s[36:37]
	v_fma_f64 v[123:124], v[28:29], s[14:15], -v[123:124]
	v_add_f64 v[78:79], v[82:83], v[78:79]
	v_fma_f64 v[82:83], v[28:29], s[28:29], v[76:77]
	v_fma_f64 v[28:29], v[28:29], s[28:29], -v[76:77]
	v_mul_f64 v[76:77], v[70:71], s[38:39]
	v_add_f64 v[127:128], v[127:128], v[151:152]
	v_add_f64 v[108:109], v[108:109], v[119:120]
	;; [unrolled: 1-line block ×3, first 2 shown]
	v_fma_f64 v[119:120], v[40:41], s[14:15], v[68:69]
	v_add_f64 v[121:122], v[123:124], v[121:122]
	v_mul_f64 v[123:124], v[70:71], s[50:51]
	v_fma_f64 v[68:69], v[40:41], s[14:15], -v[68:69]
	v_mul_f64 v[125:126], v[70:71], s[46:47]
	v_add_f64 v[0:1], v[28:29], v[0:1]
	v_fma_f64 v[28:29], v[40:41], s[34:35], v[76:77]
	v_add_f64 v[82:83], v[82:83], v[127:128]
	v_add_f64 v[52:53], v[119:120], v[52:53]
	v_fma_f64 v[76:77], v[40:41], s[34:35], -v[76:77]
	v_fma_f64 v[119:120], v[40:41], s[16:17], v[123:124]
	v_fma_f64 v[123:124], v[40:41], s[16:17], -v[123:124]
	v_add_f64 v[68:69], v[68:69], v[74:75]
	v_fma_f64 v[74:75], v[40:41], s[6:7], v[125:126]
	v_mul_f64 v[127:128], v[70:71], s[44:45]
	v_add_f64 v[28:29], v[28:29], v[80:81]
	v_mul_f64 v[80:81], v[70:71], s[30:31]
	s_mov_b32 s55, 0x3fe9895b
	s_mov_b32 s54, s24
	v_add_f64 v[114:115], v[131:132], v[114:115]
	v_add_f64 v[76:77], v[76:77], v[86:87]
	;; [unrolled: 1-line block ×4, first 2 shown]
	v_fma_f64 v[88:89], v[40:41], s[6:7], -v[125:126]
	v_add_f64 v[74:75], v[74:75], v[110:111]
	v_fma_f64 v[110:111], v[40:41], s[0:1], v[127:128]
	v_fma_f64 v[119:120], v[40:41], s[0:1], -v[127:128]
	v_fma_f64 v[123:124], v[40:41], s[28:29], v[80:81]
	v_mul_f64 v[125:126], v[70:71], s[54:55]
	v_mul_f64 v[70:71], v[70:71], s[48:49]
	v_add_f64 v[64:65], v[64:65], -v[66:67]
	v_fma_f64 v[80:81], v[40:41], s[28:29], -v[80:81]
	v_add_f64 v[50:51], v[88:89], v[50:51]
	v_add_f64 v[72:73], v[110:111], v[72:73]
	;; [unrolled: 1-line block ×4, first 2 shown]
	v_fma_f64 v[88:89], v[40:41], s[22:23], v[125:126]
	v_fma_f64 v[110:111], v[40:41], s[22:23], -v[125:126]
	v_fma_f64 v[114:115], v[40:41], s[8:9], v[70:71]
	v_mul_f64 v[62:63], v[64:65], s[18:19]
	v_fma_f64 v[40:41], v[40:41], s[8:9], -v[70:71]
	v_add_f64 v[70:71], v[80:81], v[108:109]
	v_mul_f64 v[80:81], v[64:65], s[52:53]
	v_mul_f64 v[108:109], v[64:65], s[48:49]
	v_add_f64 v[88:89], v[88:89], v[112:113]
	v_mul_f64 v[119:120], v[64:65], s[44:45]
	v_add_f64 v[82:83], v[114:115], v[82:83]
	v_fma_f64 v[112:113], v[38:39], s[16:17], v[62:63]
	v_add_f64 v[0:1], v[40:41], v[0:1]
	v_fma_f64 v[40:41], v[38:39], s[16:17], -v[62:63]
	v_fma_f64 v[62:63], v[38:39], s[28:29], v[80:81]
	v_fma_f64 v[80:81], v[38:39], s[28:29], -v[80:81]
	v_fma_f64 v[114:115], v[38:39], s[8:9], v[108:109]
	v_fma_f64 v[108:109], v[38:39], s[8:9], -v[108:109]
	s_mov_b32 s45, 0x3fefdd0d
	v_add_f64 v[52:53], v[112:113], v[52:53]
	v_mul_f64 v[112:113], v[64:65], s[38:39]
	s_mov_b32 s44, s36
	v_add_f64 v[28:29], v[62:63], v[28:29]
	v_add_f64 v[62:63], v[80:81], v[76:77]
	v_fma_f64 v[76:77], v[38:39], s[0:1], v[119:120]
	v_add_f64 v[40:41], v[40:41], v[68:69]
	v_add_f64 v[68:69], v[114:115], v[86:87]
	;; [unrolled: 1-line block ×3, first 2 shown]
	v_fma_f64 v[84:85], v[38:39], s[0:1], -v[119:120]
	v_fma_f64 v[86:87], v[38:39], s[34:35], v[112:113]
	v_mul_f64 v[108:109], v[64:65], s[44:45]
	v_add_f64 v[58:59], v[58:59], -v[60:61]
	v_add_f64 v[74:75], v[76:77], v[74:75]
	v_mul_f64 v[76:77], v[64:65], s[26:27]
	v_mul_f64 v[60:61], v[64:65], s[24:25]
	v_add_f64 v[78:79], v[123:124], v[78:79]
	v_add_f64 v[50:51], v[84:85], v[50:51]
	;; [unrolled: 1-line block ×3, first 2 shown]
	v_fma_f64 v[84:85], v[38:39], s[14:15], -v[108:109]
	v_fma_f64 v[112:113], v[38:39], s[34:35], -v[112:113]
	v_fma_f64 v[64:65], v[38:39], s[14:15], v[108:109]
	v_fma_f64 v[86:87], v[38:39], s[6:7], v[76:77]
	v_fma_f64 v[76:77], v[38:39], s[6:7], -v[76:77]
	v_add_f64 v[36:37], v[56:57], v[36:37]
	v_mul_f64 v[56:57], v[58:59], s[24:25]
	v_fma_f64 v[108:109], v[38:39], s[22:23], v[60:61]
	v_fma_f64 v[38:39], v[38:39], s[22:23], -v[60:61]
	v_add_f64 v[60:61], v[84:85], v[70:71]
	v_add_f64 v[64:65], v[64:65], v[78:79]
	;; [unrolled: 1-line block ×3, first 2 shown]
	v_mul_f64 v[86:87], v[58:59], s[26:27]
	v_mul_f64 v[78:79], v[58:59], s[50:51]
	v_fma_f64 v[84:85], v[36:37], s[22:23], v[56:57]
	v_add_f64 v[82:83], v[108:109], v[82:83]
	v_add_f64 v[0:1], v[38:39], v[0:1]
	v_fma_f64 v[38:39], v[36:37], s[22:23], -v[56:57]
	v_mul_f64 v[56:57], v[58:59], s[30:31]
	v_add_f64 v[110:111], v[110:111], v[121:122]
	v_fma_f64 v[108:109], v[36:37], s[6:7], v[86:87]
	v_fma_f64 v[86:87], v[36:37], s[6:7], -v[86:87]
	v_fma_f64 v[88:89], v[36:37], s[16:17], v[78:79]
	v_fma_f64 v[78:79], v[36:37], s[16:17], -v[78:79]
	v_add_f64 v[52:53], v[84:85], v[52:53]
	v_mul_f64 v[84:85], v[58:59], s[44:45]
	v_add_f64 v[38:39], v[38:39], v[40:41]
	v_fma_f64 v[40:41], v[36:37], s[28:29], v[56:57]
	v_add_f64 v[66:67], v[112:113], v[66:67]
	v_add_f64 v[80:81], v[86:87], v[80:81]
	v_mul_f64 v[86:87], v[58:59], s[40:41]
	v_add_f64 v[62:63], v[78:79], v[62:63]
	v_fma_f64 v[56:57], v[36:37], s[28:29], -v[56:57]
	v_fma_f64 v[78:79], v[36:37], s[14:15], v[84:85]
	v_add_f64 v[46:47], v[46:47], -v[54:55]
	v_add_f64 v[40:41], v[40:41], v[74:75]
	v_fma_f64 v[74:75], v[36:37], s[14:15], -v[84:85]
	v_mul_f64 v[84:85], v[58:59], s[38:39]
	v_mul_f64 v[54:55], v[58:59], s[42:43]
	v_fma_f64 v[58:59], v[36:37], s[8:9], v[86:87]
	v_add_f64 v[76:77], v[76:77], v[110:111]
	v_add_f64 v[50:51], v[56:57], v[50:51]
	;; [unrolled: 1-line block ×3, first 2 shown]
	v_fma_f64 v[72:73], v[36:37], s[8:9], -v[86:87]
	v_add_f64 v[66:67], v[74:75], v[66:67]
	v_fma_f64 v[74:75], v[36:37], s[34:35], v[84:85]
	v_fma_f64 v[78:79], v[36:37], s[34:35], -v[84:85]
	v_add_f64 v[44:45], v[44:45], v[48:49]
	v_mul_f64 v[48:49], v[46:47], s[30:31]
	v_fma_f64 v[84:85], v[36:37], s[0:1], v[54:55]
	v_fma_f64 v[36:37], v[36:37], s[0:1], -v[54:55]
	v_add_f64 v[58:59], v[58:59], v[64:65]
	v_mul_f64 v[64:65], v[46:47], s[42:43]
	v_add_f64 v[60:61], v[72:73], v[60:61]
	v_add_f64 v[54:55], v[74:75], v[70:71]
	;; [unrolled: 1-line block ×3, first 2 shown]
	v_fma_f64 v[72:73], v[44:45], s[28:29], v[48:49]
	v_mul_f64 v[76:77], v[46:47], s[36:37]
	v_fma_f64 v[48:49], v[44:45], s[28:29], -v[48:49]
	v_add_f64 v[0:1], v[36:37], v[0:1]
	v_mul_f64 v[36:37], v[46:47], s[54:55]
	v_add_f64 v[28:29], v[88:89], v[28:29]
	v_fma_f64 v[78:79], v[44:45], s[0:1], v[64:65]
	v_add_f64 v[74:75], v[84:85], v[82:83]
	v_fma_f64 v[64:65], v[44:45], s[0:1], -v[64:65]
	v_add_f64 v[52:53], v[72:73], v[52:53]
	v_mul_f64 v[72:73], v[46:47], s[26:27]
	v_fma_f64 v[82:83], v[44:45], s[14:15], v[76:77]
	v_add_f64 v[38:39], v[48:49], v[38:39]
	v_fma_f64 v[48:49], v[44:45], s[14:15], -v[76:77]
	v_fma_f64 v[76:77], v[44:45], s[22:23], v[36:37]
	v_add_f64 v[28:29], v[78:79], v[28:29]
	v_mul_f64 v[78:79], v[46:47], s[38:39]
	v_add_f64 v[62:63], v[64:65], v[62:63]
	v_fma_f64 v[36:37], v[44:45], s[22:23], -v[36:37]
	v_fma_f64 v[64:65], v[44:45], s[6:7], v[72:73]
	v_fma_f64 v[72:73], v[44:45], s[6:7], -v[72:73]
	v_add_f64 v[32:33], v[32:33], -v[42:43]
	v_add_f64 v[40:41], v[76:77], v[40:41]
	v_mul_f64 v[76:77], v[46:47], s[48:49]
	v_fma_f64 v[42:43], v[44:45], s[34:35], v[78:79]
	v_mul_f64 v[46:47], v[46:47], s[18:19]
	v_add_f64 v[36:37], v[36:37], v[50:51]
	v_add_f64 v[50:51], v[64:65], v[56:57]
	v_fma_f64 v[56:57], v[44:45], s[34:35], -v[78:79]
	v_add_f64 v[64:65], v[72:73], v[66:67]
	v_add_f64 v[26:27], v[26:27], v[34:35]
	v_fma_f64 v[66:67], v[44:45], s[8:9], v[76:77]
	v_fma_f64 v[72:73], v[44:45], s[8:9], -v[76:77]
	v_mul_f64 v[34:35], v[32:33], s[38:39]
	v_add_f64 v[42:43], v[42:43], v[58:59]
	v_fma_f64 v[58:59], v[44:45], s[16:17], v[46:47]
	v_add_f64 v[68:69], v[108:109], v[68:69]
	v_add_f64 v[56:57], v[56:57], v[60:61]
	v_mul_f64 v[60:61], v[32:33], s[46:47]
	v_add_f64 v[54:55], v[66:67], v[54:55]
	v_add_f64 v[66:67], v[72:73], v[70:71]
	v_fma_f64 v[44:45], v[44:45], s[16:17], -v[46:47]
	v_fma_f64 v[46:47], v[26:27], s[34:35], v[34:35]
	v_mul_f64 v[70:71], v[32:33], s[30:31]
	v_fma_f64 v[34:35], v[26:27], s[34:35], -v[34:35]
	v_add_f64 v[58:59], v[58:59], v[74:75]
	v_mul_f64 v[74:75], v[32:33], s[48:49]
	v_add_f64 v[68:69], v[82:83], v[68:69]
	v_add_f64 v[48:49], v[48:49], v[80:81]
	v_fma_f64 v[72:73], v[26:27], s[6:7], v[60:61]
	v_fma_f64 v[60:61], v[26:27], s[6:7], -v[60:61]
	v_add_f64 v[0:1], v[44:45], v[0:1]
	v_add_f64 v[44:45], v[46:47], v[52:53]
	v_fma_f64 v[46:47], v[26:27], s[28:29], v[70:71]
	v_add_f64 v[34:35], v[34:35], v[38:39]
	v_fma_f64 v[38:39], v[26:27], s[28:29], -v[70:71]
	v_fma_f64 v[52:53], v[26:27], s[8:9], v[74:75]
	v_mul_f64 v[70:71], v[32:33], s[24:25]
	v_add_f64 v[60:61], v[60:61], v[62:63]
	v_fma_f64 v[62:63], v[26:27], s[8:9], -v[74:75]
	v_add_f64 v[28:29], v[72:73], v[28:29]
	v_add_f64 v[46:47], v[46:47], v[68:69]
	v_mul_f64 v[68:69], v[32:33], s[42:43]
	v_add_f64 v[38:39], v[38:39], v[48:49]
	v_mul_f64 v[48:49], v[32:33], s[18:19]
	v_mul_f64 v[32:33], v[32:33], s[44:45]
	v_add_f64 v[40:41], v[52:53], v[40:41]
	v_fma_f64 v[52:53], v[26:27], s[22:23], v[70:71]
	v_add_f64 v[36:37], v[62:63], v[36:37]
	v_fma_f64 v[62:63], v[26:27], s[22:23], -v[70:71]
	v_fma_f64 v[70:71], v[26:27], s[0:1], v[68:69]
	v_fma_f64 v[68:69], v[26:27], s[0:1], -v[68:69]
	v_fma_f64 v[72:73], v[26:27], s[16:17], v[48:49]
	v_fma_f64 v[48:49], v[26:27], s[16:17], -v[48:49]
	v_fma_f64 v[74:75], v[26:27], s[14:15], v[32:33]
	v_fma_f64 v[26:27], v[26:27], s[14:15], -v[32:33]
	v_add_f64 v[32:33], v[52:53], v[50:51]
	v_add_f64 v[50:51], v[62:63], v[64:65]
	;; [unrolled: 1-line block ×8, first 2 shown]
	v_mov_b32_e32 v27, 3
	v_mul_u32_u24_e32 v26, 0x198, v95
	v_lshlrev_b32_sdwa v27, v27, v118 dst_sel:DWORD dst_unused:UNUSED_PAD src0_sel:DWORD src1_sel:BYTE_0
	v_add3_u32 v26, 0, v26, v27
	ds_write2_b64 v26, v[30:31], v[44:45] offset1:3
	ds_write2_b64 v26, v[28:29], v[46:47] offset0:6 offset1:9
	ds_write2_b64 v26, v[40:41], v[32:33] offset0:12 offset1:15
	;; [unrolled: 1-line block ×7, first 2 shown]
	ds_write_b64 v26, v[34:35] offset:384
.LBB0_27:
	s_or_b64 exec, exec, s[2:3]
	v_mul_u32_u24_e32 v0, 6, v94
	v_lshlrev_b32_e32 v0, 4, v0
	s_waitcnt lgkmcnt(0)
	; wave barrier
	s_waitcnt lgkmcnt(0)
	global_load_dwordx4 v[26:29], v0, s[12:13] offset:768
	global_load_dwordx4 v[30:33], v0, s[12:13] offset:784
	;; [unrolled: 1-line block ×6, first 2 shown]
	ds_read2_b64 v[50:53], v117 offset1:153
	ds_read2_b64 v[54:57], v117 offset0:204 offset1:255
	ds_read2_b64 v[58:61], v105 offset0:50 offset1:101
	;; [unrolled: 1-line block ×5, first 2 shown]
	ds_read_b64 v[0:1], v103
	ds_read_b64 v[74:75], v104
	s_mov_b32 s2, 0x37e14327
	s_mov_b32 s0, 0x36b3c0b5
	;; [unrolled: 1-line block ×20, first 2 shown]
	s_waitcnt lgkmcnt(0)
	; wave barrier
	s_waitcnt vmcnt(5) lgkmcnt(0)
	v_mul_f64 v[76:77], v[0:1], v[28:29]
	v_mul_f64 v[78:79], v[101:102], v[28:29]
	s_waitcnt vmcnt(4)
	v_mul_f64 v[80:81], v[54:55], v[32:33]
	v_mul_f64 v[82:83], v[18:19], v[32:33]
	s_waitcnt vmcnt(1)
	;; [unrolled: 3-line block ×3, first 2 shown]
	v_mul_f64 v[114:115], v[70:71], v[48:49]
	v_mul_f64 v[118:119], v[2:3], v[48:49]
	v_mul_f64 v[84:85], v[58:59], v[36:37]
	v_mul_f64 v[86:87], v[22:23], v[36:37]
	v_mul_f64 v[88:89], v[62:63], v[40:41]
	v_mul_f64 v[108:109], v[10:11], v[40:41]
	v_mul_f64 v[120:121], v[52:53], v[28:29]
	v_mul_f64 v[28:29], v[8:9], v[28:29]
	v_mul_f64 v[122:123], v[56:57], v[32:33]
	v_mul_f64 v[32:33], v[20:21], v[32:33]
	v_mul_f64 v[124:125], v[60:61], v[36:37]
	v_mul_f64 v[36:37], v[24:25], v[36:37]
	v_mul_f64 v[126:127], v[64:65], v[40:41]
	v_mul_f64 v[40:41], v[12:13], v[40:41]
	v_mul_f64 v[128:129], v[68:69], v[44:45]
	v_mul_f64 v[44:45], v[16:17], v[44:45]
	v_fma_f64 v[76:77], v[101:102], v[26:27], -v[76:77]
	v_fma_f64 v[0:1], v[0:1], v[26:27], v[78:79]
	v_fma_f64 v[18:19], v[18:19], v[30:31], -v[80:81]
	v_fma_f64 v[54:55], v[54:55], v[30:31], v[82:83]
	;; [unrolled: 2-line block ×11, first 2 shown]
	v_add_f64 v[36:37], v[76:77], v[2:3]
	v_add_f64 v[38:39], v[0:1], v[70:71]
	;; [unrolled: 1-line block ×4, first 2 shown]
	v_add_f64 v[2:3], v[76:77], -v[2:3]
	v_add_f64 v[0:1], v[0:1], -v[70:71]
	;; [unrolled: 1-line block ×4, first 2 shown]
	v_add_f64 v[44:45], v[22:23], v[10:11]
	v_add_f64 v[52:53], v[58:59], v[62:63]
	v_add_f64 v[10:11], v[10:11], -v[22:23]
	v_add_f64 v[22:23], v[62:63], -v[58:59]
	v_add_f64 v[54:55], v[40:41], v[36:37]
	v_add_f64 v[56:57], v[42:43], v[38:39]
	v_add_f64 v[58:59], v[40:41], -v[36:37]
	v_add_f64 v[60:61], v[42:43], -v[38:39]
	;; [unrolled: 1-line block ×6, first 2 shown]
	v_add_f64 v[62:63], v[10:11], v[14:15]
	v_add_f64 v[64:65], v[22:23], v[18:19]
	v_add_f64 v[66:67], v[10:11], -v[14:15]
	v_add_f64 v[68:69], v[22:23], -v[18:19]
	;; [unrolled: 1-line block ×4, first 2 shown]
	v_add_f64 v[44:45], v[44:45], v[54:55]
	v_add_f64 v[52:53], v[52:53], v[56:57]
	v_add_f64 v[10:11], v[2:3], -v[10:11]
	v_add_f64 v[22:23], v[0:1], -v[22:23]
	v_add_f64 v[2:3], v[62:63], v[2:3]
	v_add_f64 v[0:1], v[64:65], v[0:1]
	v_mul_f64 v[36:37], v[36:37], s[2:3]
	v_mul_f64 v[38:39], v[38:39], s[2:3]
	;; [unrolled: 1-line block ×8, first 2 shown]
	v_add_f64 v[6:7], v[6:7], v[44:45]
	v_add_f64 v[50:51], v[50:51], v[52:53]
	v_mul_f64 v[130:131], v[72:73], v[48:49]
	v_mul_f64 v[48:49], v[4:5], v[48:49]
	v_fma_f64 v[40:41], v[40:41], s[0:1], v[36:37]
	v_fma_f64 v[42:43], v[42:43], s[0:1], v[38:39]
	v_fma_f64 v[54:55], v[58:59], s[16:17], -v[54:55]
	v_fma_f64 v[56:57], v[60:61], s[16:17], -v[56:57]
	;; [unrolled: 1-line block ×4, first 2 shown]
	v_fma_f64 v[44:45], v[44:45], s[14:15], v[6:7]
	v_fma_f64 v[52:53], v[52:53], s[14:15], v[50:51]
	;; [unrolled: 1-line block ×4, first 2 shown]
	v_fma_f64 v[14:15], v[14:15], s[6:7], -v[62:63]
	v_fma_f64 v[18:19], v[18:19], s[6:7], -v[64:65]
	;; [unrolled: 1-line block ×4, first 2 shown]
	v_add_f64 v[40:41], v[40:41], v[44:45]
	v_add_f64 v[42:43], v[42:43], v[52:53]
	;; [unrolled: 1-line block ×6, first 2 shown]
	v_fma_f64 v[44:45], v[0:1], s[26:27], v[60:61]
	v_fma_f64 v[52:53], v[2:3], s[26:27], v[58:59]
	;; [unrolled: 1-line block ×6, first 2 shown]
	v_fma_f64 v[4:5], v[4:5], v[46:47], -v[130:131]
	v_fma_f64 v[14:15], v[72:73], v[46:47], v[48:49]
	v_add_f64 v[18:19], v[44:45], v[40:41]
	v_add_f64 v[46:47], v[42:43], -v[52:53]
	v_add_f64 v[48:49], v[22:23], v[36:37]
	v_add_f64 v[58:59], v[38:39], -v[10:11]
	v_add_f64 v[60:61], v[54:55], -v[0:1]
	v_add_f64 v[62:63], v[2:3], v[56:57]
	v_add_f64 v[0:1], v[0:1], v[54:55]
	v_add_f64 v[54:55], v[56:57], -v[2:3]
	v_add_f64 v[2:3], v[36:37], -v[22:23]
	v_add_f64 v[36:37], v[10:11], v[38:39]
	v_add_f64 v[10:11], v[8:9], v[4:5]
	;; [unrolled: 1-line block ×3, first 2 shown]
	v_add_f64 v[4:5], v[8:9], -v[4:5]
	v_add_f64 v[8:9], v[26:27], -v[14:15]
	v_add_f64 v[14:15], v[20:21], v[16:17]
	v_add_f64 v[26:27], v[28:29], v[34:35]
	v_add_f64 v[16:17], v[20:21], -v[16:17]
	v_add_f64 v[20:21], v[28:29], -v[34:35]
	v_add_f64 v[28:29], v[24:25], v[12:13]
	v_add_f64 v[34:35], v[30:31], v[32:33]
	;; [unrolled: 4-line block ×3, first 2 shown]
	v_add_f64 v[38:39], v[14:15], -v[10:11]
	v_add_f64 v[56:57], v[26:27], -v[22:23]
	;; [unrolled: 1-line block ×6, first 2 shown]
	v_add_f64 v[64:65], v[12:13], v[16:17]
	v_add_f64 v[66:67], v[24:25], v[20:21]
	v_add_f64 v[70:71], v[24:25], -v[20:21]
	v_add_f64 v[28:29], v[28:29], v[30:31]
	v_add_f64 v[30:31], v[34:35], v[32:33]
	v_add_f64 v[20:21], v[20:21], -v[8:9]
	v_add_f64 v[68:69], v[12:13], -v[16:17]
	;; [unrolled: 1-line block ×5, first 2 shown]
	v_add_f64 v[4:5], v[64:65], v[4:5]
	v_add_f64 v[8:9], v[66:67], v[8:9]
	;; [unrolled: 1-line block ×4, first 2 shown]
	v_mul_f64 v[10:11], v[10:11], s[2:3]
	v_mul_f64 v[22:23], v[22:23], s[2:3]
	;; [unrolled: 1-line block ×8, first 2 shown]
	v_fma_f64 v[28:29], v[28:29], s[14:15], v[32:33]
	v_fma_f64 v[14:15], v[14:15], s[0:1], v[10:11]
	;; [unrolled: 1-line block ×3, first 2 shown]
	v_fma_f64 v[64:65], v[38:39], s[16:17], -v[64:65]
	v_fma_f64 v[66:67], v[56:57], s[16:17], -v[66:67]
	;; [unrolled: 1-line block ×4, first 2 shown]
	v_fma_f64 v[56:57], v[24:25], s[22:23], v[70:71]
	v_fma_f64 v[24:25], v[24:25], s[24:25], -v[74:75]
	v_fma_f64 v[20:21], v[20:21], s[6:7], -v[70:71]
	v_fma_f64 v[30:31], v[30:31], s[14:15], v[34:35]
	v_fma_f64 v[38:39], v[12:13], s[22:23], v[68:69]
	v_fma_f64 v[16:17], v[16:17], s[6:7], -v[68:69]
	v_fma_f64 v[12:13], v[12:13], s[24:25], -v[72:73]
	v_add_f64 v[14:15], v[14:15], v[28:29]
	v_add_f64 v[64:65], v[64:65], v[28:29]
	;; [unrolled: 1-line block ×3, first 2 shown]
	v_fma_f64 v[28:29], v[8:9], s[26:27], v[56:57]
	v_fma_f64 v[24:25], v[8:9], s[26:27], v[24:25]
	;; [unrolled: 1-line block ×3, first 2 shown]
	v_add_f64 v[26:27], v[26:27], v[30:31]
	v_add_f64 v[66:67], v[66:67], v[30:31]
	;; [unrolled: 1-line block ×3, first 2 shown]
	v_fma_f64 v[30:31], v[4:5], s[26:27], v[38:39]
	v_fma_f64 v[12:13], v[4:5], s[26:27], v[12:13]
	;; [unrolled: 1-line block ×3, first 2 shown]
	v_add_f64 v[16:17], v[40:41], -v[44:45]
	v_add_f64 v[38:39], v[52:53], v[42:43]
	v_add_f64 v[20:21], v[28:29], v[14:15]
	;; [unrolled: 1-line block ×3, first 2 shown]
	v_add_f64 v[52:53], v[64:65], -v[8:9]
	v_add_f64 v[8:9], v[8:9], v[64:65]
	v_add_f64 v[40:41], v[26:27], -v[30:31]
	v_add_f64 v[56:57], v[4:5], v[66:67]
	v_add_f64 v[64:65], v[66:67], -v[4:5]
	v_add_f64 v[4:5], v[10:11], -v[24:25]
	;; [unrolled: 1-line block ×3, first 2 shown]
	v_lshl_add_u32 v28, v100, 3, 0
	v_add_f64 v[44:45], v[22:23], -v[12:13]
	v_add_f64 v[66:67], v[12:13], v[22:23]
	v_add_f64 v[30:31], v[30:31], v[26:27]
	ds_write2_b64 v117, v[6:7], v[18:19] offset1:51
	ds_write2_b64 v117, v[48:49], v[60:61] offset0:102 offset1:153
	ds_write2_b64 v117, v[0:1], v[2:3] offset0:204 offset1:255
	;; [unrolled: 1-line block ×6, first 2 shown]
	s_waitcnt lgkmcnt(0)
	; wave barrier
	s_waitcnt lgkmcnt(0)
	ds_read2_b64 v[0:3], v117 offset1:204
	ds_read2_b64 v[4:7], v105 offset0:101 offset1:152
	ds_read_b64 v[24:25], v28
	ds_read_b64 v[26:27], v117 offset:5304
	ds_read_b64 v[20:21], v104
	ds_read_b64 v[22:23], v103
	ds_read2_b64 v[8:11], v105 offset0:203 offset1:254
	ds_read2_b64 v[16:19], v107 offset0:49 offset1:100
	v_add_u32_e32 v29, 0x400, v117
	ds_read2_b64 v[12:15], v29 offset0:127 offset1:178
	s_waitcnt lgkmcnt(0)
	; wave barrier
	s_waitcnt lgkmcnt(0)
	ds_write2_b64 v117, v[50:51], v[46:47] offset1:51
	ds_write2_b64 v117, v[58:59], v[62:63] offset0:102 offset1:153
	ds_write2_b64 v117, v[54:55], v[36:37] offset0:204 offset1:255
	ds_write2_b64 v105, v[38:39], v[34:35] offset0:50 offset1:101
	ds_write2_b64 v105, v[40:41], v[44:45] offset0:152 offset1:203
	ds_write2_b64 v106, v[56:57], v[64:65] offset0:126 offset1:177
	ds_write2_b64 v107, v[66:67], v[30:31] offset0:100 offset1:151
	s_waitcnt lgkmcnt(0)
	; wave barrier
	s_waitcnt lgkmcnt(0)
	s_and_saveexec_b64 s[0:1], vcc
	s_cbranch_execz .LBB0_29
; %bb.28:
	v_add_u32_e32 v49, 0x132, v94
	v_mov_b32_e32 v50, 0
	v_lshlrev_b64 v[30:31], 4, v[49:50]
	v_mov_b32_e32 v52, s13
	v_add_co_u32_e32 v30, vcc, s12, v30
	v_addc_co_u32_e32 v31, vcc, v52, v31, vcc
	s_movk_i32 s0, 0x1000
	v_add_co_u32_e32 v38, vcc, s0, v30
	v_mov_b32_e32 v95, v50
	v_addc_co_u32_e32 v39, vcc, 0, v31, vcc
	v_lshlrev_b64 v[30:31], 4, v[94:95]
	s_movk_i32 s1, 0x2000
	v_add_co_u32_e32 v54, vcc, s12, v30
	v_addc_co_u32_e32 v55, vcc, v52, v31, vcc
	v_add_co_u32_e32 v46, vcc, s1, v54
	v_mov_b32_e32 v101, v50
	v_addc_co_u32_e32 v47, vcc, 0, v55, vcc
	global_load_dwordx4 v[30:33], v[38:39], off offset:1568
	global_load_dwordx4 v[34:37], v[46:47], off offset:736
	v_lshlrev_b64 v[38:39], 4, v[100:101]
	v_mov_b32_e32 v100, v50
	v_add_co_u32_e32 v38, vcc, s12, v38
	v_addc_co_u32_e32 v39, vcc, v52, v39, vcc
	v_add_co_u32_e32 v48, vcc, s0, v38
	v_addc_co_u32_e32 v49, vcc, 0, v39, vcc
	global_load_dwordx4 v[38:41], v[46:47], off offset:1552
	global_load_dwordx4 v[42:45], v[48:49], off offset:1568
	v_lshlrev_b64 v[46:47], 4, v[99:100]
	v_mov_b32_e32 v99, v50
	v_add_co_u32_e32 v46, vcc, s12, v46
	v_addc_co_u32_e32 v47, vcc, v52, v47, vcc
	v_add_co_u32_e32 v46, vcc, s0, v46
	v_lshlrev_b64 v[50:51], 4, v[98:99]
	v_addc_co_u32_e32 v47, vcc, 0, v47, vcc
	v_add_co_u32_e32 v50, vcc, s12, v50
	v_addc_co_u32_e32 v51, vcc, v52, v51, vcc
	v_add_co_u32_e32 v50, vcc, s0, v50
	v_addc_co_u32_e32 v51, vcc, 0, v51, vcc
	global_load_dwordx4 v[46:49], v[46:47], off offset:1568
	v_add_co_u32_e32 v54, vcc, s0, v54
	global_load_dwordx4 v[50:53], v[50:51], off offset:1568
	v_addc_co_u32_e32 v55, vcc, 0, v55, vcc
	global_load_dwordx4 v[54:57], v[54:55], off offset:1568
	ds_read2_b64 v[58:61], v29 offset0:127 offset1:178
	ds_read_b64 v[76:77], v117 offset:5304
	v_mul_lo_u32 v84, s5, v96
	v_mul_lo_u32 v85, s4, v97
	v_mad_u64_u32 v[74:75], s[0:1], s4, v96, 0
	v_add_u32_e32 v29, 0x1000, v117
	ds_read2_b64 v[62:65], v117 offset1:204
	v_add_u32_e32 v95, 0x800, v117
	ds_read_b64 v[78:79], v103
	ds_read_b64 v[80:81], v28
	;; [unrolled: 1-line block ×3, first 2 shown]
	ds_read2_b64 v[66:69], v29 offset0:49 offset1:100
	ds_read2_b64 v[70:73], v95 offset0:203 offset1:254
	v_add3_u32 v75, v75, v85, v84
	s_mov_b32 s0, 0x16f26017
	s_movk_i32 s1, 0x2ca
	s_waitcnt vmcnt(6)
	v_mul_f64 v[28:29], v[26:27], v[32:33]
	s_waitcnt lgkmcnt(6)
	v_mul_f64 v[32:33], v[76:77], v[32:33]
	s_waitcnt vmcnt(5)
	v_mul_f64 v[86:87], v[16:17], v[36:37]
	s_waitcnt lgkmcnt(1)
	v_mul_f64 v[36:37], v[66:67], v[36:37]
	v_fma_f64 v[28:29], v[76:77], v[30:31], v[28:29]
	v_fma_f64 v[26:27], v[26:27], v[30:31], -v[32:33]
	s_waitcnt vmcnt(4)
	v_mul_f64 v[84:85], v[18:19], v[40:41]
	v_mul_f64 v[40:41], v[68:69], v[40:41]
	s_waitcnt vmcnt(3)
	v_mul_f64 v[88:89], v[10:11], v[44:45]
	s_waitcnt lgkmcnt(0)
	v_mul_f64 v[44:45], v[72:73], v[44:45]
	v_fma_f64 v[30:31], v[68:69], v[38:39], v[84:85]
	v_fma_f64 v[32:33], v[18:19], v[38:39], -v[40:41]
	v_fma_f64 v[38:39], v[66:67], v[34:35], v[86:87]
	v_fma_f64 v[34:35], v[16:17], v[34:35], -v[36:37]
	v_add_f64 v[18:19], v[60:61], -v[28:29]
	v_add_f64 v[16:17], v[14:15], -v[26:27]
	v_fma_f64 v[66:67], v[72:73], v[42:43], v[88:89]
	v_fma_f64 v[10:11], v[10:11], v[42:43], -v[44:45]
	v_add_f64 v[28:29], v[58:59], -v[30:31]
	v_add_f64 v[26:27], v[12:13], -v[32:33]
	;; [unrolled: 1-line block ×4, first 2 shown]
	ds_read2_b64 v[42:45], v95 offset0:101 offset1:152
	s_waitcnt vmcnt(2)
	v_mul_f64 v[90:91], v[8:9], v[48:49]
	v_mul_f64 v[48:49], v[70:71], v[48:49]
	v_fma_f64 v[34:35], v[14:15], 2.0, -v[16:17]
	v_fma_f64 v[14:15], v[58:59], 2.0, -v[28:29]
	v_add_f64 v[58:59], v[24:25], -v[10:11]
	v_fma_f64 v[40:41], v[64:65], 2.0, -v[32:33]
	s_waitcnt vmcnt(1)
	v_mul_f64 v[64:65], v[6:7], v[52:53]
	v_fma_f64 v[38:39], v[2:3], 2.0, -v[30:31]
	s_waitcnt lgkmcnt(0)
	v_mul_f64 v[2:3], v[44:45], v[52:53]
	s_waitcnt vmcnt(0)
	v_mul_f64 v[52:53], v[4:5], v[56:57]
	v_fma_f64 v[8:9], v[8:9], v[46:47], -v[48:49]
	v_fma_f64 v[68:69], v[70:71], v[46:47], v[90:91]
	v_fma_f64 v[36:37], v[60:61], 2.0, -v[18:19]
	v_add_f64 v[60:61], v[80:81], -v[66:67]
	v_fma_f64 v[48:49], v[44:45], v[50:51], v[64:65]
	v_fma_f64 v[44:45], v[24:25], 2.0, -v[58:59]
	v_fma_f64 v[2:3], v[6:7], v[50:51], -v[2:3]
	v_mul_f64 v[24:25], v[42:43], v[56:57]
	v_fma_f64 v[42:43], v[42:43], v[54:55], v[52:53]
	v_mul_hi_u32 v52, v94, s0
	v_mov_b32_e32 v57, s11
	v_add_f64 v[8:9], v[22:23], -v[8:9]
	v_add_f64 v[50:51], v[82:83], -v[48:49]
	;; [unrolled: 1-line block ×4, first 2 shown]
	v_lshrrev_b32_e32 v2, 5, v52
	v_mul_u32_u24_e32 v2, 0x165, v2
	v_sub_u32_e32 v56, v94, v2
	v_fma_f64 v[4:5], v[4:5], v[54:55], -v[24:25]
	v_mad_u64_u32 v[24:25], s[2:3], s20, v56, 0
	v_add_f64 v[54:55], v[62:63], -v[42:43]
	v_fma_f64 v[20:21], v[20:21], 2.0, -v[48:49]
	v_mov_b32_e32 v2, v25
	v_mad_u64_u32 v[42:43], s[2:3], s21, v56, v[2:3]
	v_add_f64 v[52:53], v[0:1], -v[4:5]
	v_add_u32_e32 v56, 0x165, v56
	v_mov_b32_e32 v25, v42
	v_lshlrev_b64 v[42:43], 4, v[74:75]
	v_fma_f64 v[2:3], v[62:63], 2.0, -v[54:55]
	v_add_co_u32_e32 v62, vcc, s10, v42
	v_addc_co_u32_e32 v57, vcc, v57, v43, vcc
	v_lshlrev_b64 v[42:43], 4, v[92:93]
	v_fma_f64 v[0:1], v[0:1], 2.0, -v[52:53]
	v_add_co_u32_e32 v64, vcc, v62, v42
	v_add_u32_e32 v62, 51, v94
	v_addc_co_u32_e32 v65, vcc, v57, v43, vcc
	v_mad_u64_u32 v[42:43], s[2:3], s20, v56, 0
	v_mul_hi_u32 v63, v62, s0
	v_lshlrev_b64 v[24:25], 4, v[24:25]
	v_mad_u64_u32 v[56:57], s[2:3], s21, v56, v[43:44]
	v_lshrrev_b32_e32 v43, 5, v63
	v_mul_u32_u24_e32 v57, 0x165, v43
	v_sub_u32_e32 v57, v62, v57
	v_mad_u32_u24 v57, v43, s1, v57
	v_mad_u64_u32 v[62:63], s[2:3], s20, v57, 0
	v_add_co_u32_e32 v24, vcc, v64, v24
	v_addc_co_u32_e32 v25, vcc, v65, v25, vcc
	global_store_dwordx4 v[24:25], v[0:3], off
	v_fma_f64 v[4:5], v[22:23], 2.0, -v[8:9]
	v_mov_b32_e32 v2, v63
	v_mad_u64_u32 v[2:3], s[2:3], s21, v57, v[2:3]
	v_mov_b32_e32 v43, v56
	v_lshlrev_b64 v[0:1], 4, v[42:43]
	v_add_u32_e32 v24, 0x165, v57
	v_add_u32_e32 v42, 0x66, v94
	v_mov_b32_e32 v63, v2
	v_mad_u64_u32 v[2:3], s[2:3], s20, v24, 0
	v_mul_hi_u32 v43, v42, s0
	v_fma_f64 v[22:23], v[82:83], 2.0, -v[50:51]
	v_mad_u64_u32 v[24:25], s[2:3], s21, v24, v[3:4]
	v_lshrrev_b32_e32 v3, 5, v43
	v_mul_u32_u24_e32 v25, 0x165, v3
	v_add_co_u32_e32 v0, vcc, v64, v0
	v_sub_u32_e32 v25, v42, v25
	v_addc_co_u32_e32 v1, vcc, v65, v1, vcc
	v_mad_u32_u24 v25, v3, s1, v25
	global_store_dwordx4 v[0:1], v[52:55], off
	v_lshlrev_b64 v[0:1], 4, v[62:63]
	v_mad_u64_u32 v[42:43], s[2:3], s20, v25, 0
	v_add_co_u32_e32 v0, vcc, v64, v0
	v_addc_co_u32_e32 v1, vcc, v65, v1, vcc
	v_mov_b32_e32 v3, v24
	global_store_dwordx4 v[0:1], v[20:23], off
	v_lshlrev_b64 v[0:1], 4, v[2:3]
	v_mov_b32_e32 v2, v43
	v_mad_u64_u32 v[2:3], s[2:3], s21, v25, v[2:3]
	v_add_u32_e32 v20, 0x165, v25
	v_add_u32_e32 v22, 0x99, v94
	v_mov_b32_e32 v43, v2
	v_mad_u64_u32 v[2:3], s[2:3], s20, v20, 0
	v_mul_hi_u32 v23, v22, s0
	v_fma_f64 v[6:7], v[78:79], 2.0, -v[10:11]
	v_mad_u64_u32 v[20:21], s[2:3], s21, v20, v[3:4]
	v_lshrrev_b32_e32 v3, 5, v23
	v_mul_u32_u24_e32 v21, 0x165, v3
	v_add_co_u32_e32 v0, vcc, v64, v0
	v_sub_u32_e32 v21, v22, v21
	v_addc_co_u32_e32 v1, vcc, v65, v1, vcc
	v_mad_u32_u24 v23, v3, s1, v21
	global_store_dwordx4 v[0:1], v[48:51], off
	v_lshlrev_b64 v[0:1], 4, v[42:43]
	v_mad_u64_u32 v[21:22], s[2:3], s20, v23, 0
	v_add_co_u32_e32 v0, vcc, v64, v0
	v_addc_co_u32_e32 v1, vcc, v65, v1, vcc
	v_mov_b32_e32 v3, v20
	global_store_dwordx4 v[0:1], v[4:7], off
	v_lshlrev_b64 v[0:1], 4, v[2:3]
	v_mov_b32_e32 v2, v22
	v_mad_u64_u32 v[2:3], s[2:3], s21, v23, v[2:3]
	v_add_u32_e32 v4, 0x165, v23
	v_add_u32_e32 v5, 0xcc, v94
	v_mov_b32_e32 v22, v2
	v_mad_u64_u32 v[2:3], s[2:3], s20, v4, 0
	v_mul_hi_u32 v6, v5, s0
	v_fma_f64 v[46:47], v[80:81], 2.0, -v[60:61]
	v_mad_u64_u32 v[3:4], s[2:3], s21, v4, v[3:4]
	v_lshrrev_b32_e32 v4, 5, v6
	v_mul_u32_u24_e32 v6, 0x165, v4
	v_add_co_u32_e32 v0, vcc, v64, v0
	v_sub_u32_e32 v5, v5, v6
	v_addc_co_u32_e32 v1, vcc, v65, v1, vcc
	v_mad_u32_u24 v6, v4, s1, v5
	global_store_dwordx4 v[0:1], v[8:11], off
	v_lshlrev_b64 v[0:1], 4, v[21:22]
	v_mad_u64_u32 v[4:5], s[2:3], s20, v6, 0
	v_add_co_u32_e32 v0, vcc, v64, v0
	v_addc_co_u32_e32 v1, vcc, v65, v1, vcc
	global_store_dwordx4 v[0:1], v[44:47], off
	v_lshlrev_b64 v[0:1], 4, v[2:3]
	v_mov_b32_e32 v2, v5
	v_mad_u64_u32 v[2:3], s[2:3], s21, v6, v[2:3]
	v_add_co_u32_e32 v0, vcc, v64, v0
	v_addc_co_u32_e32 v1, vcc, v65, v1, vcc
	v_mov_b32_e32 v5, v2
	global_store_dwordx4 v[0:1], v[58:61], off
	v_lshlrev_b64 v[0:1], 4, v[4:5]
	v_add_u32_e32 v4, 0x165, v6
	v_mad_u64_u32 v[2:3], s[2:3], s20, v4, 0
	v_add_u32_e32 v5, 0xff, v94
	v_mul_hi_u32 v6, v5, s0
	v_mad_u64_u32 v[3:4], s[2:3], s21, v4, v[3:4]
	v_add_co_u32_e32 v0, vcc, v64, v0
	v_lshrrev_b32_e32 v4, 5, v6
	v_mul_u32_u24_e32 v6, 0x165, v4
	v_sub_u32_e32 v5, v5, v6
	v_mad_u32_u24 v6, v4, s1, v5
	v_mad_u64_u32 v[4:5], s[2:3], s20, v6, 0
	v_addc_co_u32_e32 v1, vcc, v65, v1, vcc
	global_store_dwordx4 v[0:1], v[38:41], off
	v_lshlrev_b64 v[0:1], 4, v[2:3]
	v_mov_b32_e32 v2, v5
	v_mad_u64_u32 v[2:3], s[2:3], s21, v6, v[2:3]
	v_add_co_u32_e32 v0, vcc, v64, v0
	v_addc_co_u32_e32 v1, vcc, v65, v1, vcc
	v_mov_b32_e32 v5, v2
	global_store_dwordx4 v[0:1], v[30:33], off
	v_lshlrev_b64 v[0:1], 4, v[4:5]
	v_add_u32_e32 v4, 0x165, v6
	v_mad_u64_u32 v[2:3], s[2:3], s20, v4, 0
	v_fma_f64 v[12:13], v[12:13], 2.0, -v[26:27]
	v_add_co_u32_e32 v0, vcc, v64, v0
	v_mad_u64_u32 v[3:4], s[2:3], s21, v4, v[3:4]
	v_add_u32_e32 v4, 0x132, v94
	v_mul_hi_u32 v5, v4, s0
	v_addc_co_u32_e32 v1, vcc, v65, v1, vcc
	global_store_dwordx4 v[0:1], v[12:15], off
	v_lshlrev_b64 v[0:1], 4, v[2:3]
	v_lshrrev_b32_e32 v2, 5, v5
	v_mul_u32_u24_e32 v3, 0x165, v2
	v_sub_u32_e32 v3, v4, v3
	v_mad_u32_u24 v5, v2, s1, v3
	v_mad_u64_u32 v[2:3], s[0:1], s20, v5, 0
	v_add_u32_e32 v6, 0x165, v5
	v_add_co_u32_e32 v0, vcc, v64, v0
	v_mad_u64_u32 v[3:4], s[0:1], s21, v5, v[3:4]
	v_mad_u64_u32 v[4:5], s[0:1], s20, v6, 0
	v_addc_co_u32_e32 v1, vcc, v65, v1, vcc
	global_store_dwordx4 v[0:1], v[26:29], off
	v_lshlrev_b64 v[0:1], 4, v[2:3]
	v_mov_b32_e32 v2, v5
	v_mad_u64_u32 v[2:3], s[0:1], s21, v6, v[2:3]
	v_add_co_u32_e32 v0, vcc, v64, v0
	v_addc_co_u32_e32 v1, vcc, v65, v1, vcc
	v_mov_b32_e32 v5, v2
	global_store_dwordx4 v[0:1], v[34:37], off
	v_lshlrev_b64 v[0:1], 4, v[4:5]
	v_add_co_u32_e32 v0, vcc, v64, v0
	v_addc_co_u32_e32 v1, vcc, v65, v1, vcc
	global_store_dwordx4 v[0:1], v[16:19], off
.LBB0_29:
	s_endpgm
	.section	.rodata,"a",@progbits
	.p2align	6, 0x0
	.amdhsa_kernel fft_rtc_fwd_len714_factors_3_17_7_2_wgs_51_tpt_51_halfLds_dp_op_CI_CI_sbrr_dirReg
		.amdhsa_group_segment_fixed_size 0
		.amdhsa_private_segment_fixed_size 0
		.amdhsa_kernarg_size 104
		.amdhsa_user_sgpr_count 6
		.amdhsa_user_sgpr_private_segment_buffer 1
		.amdhsa_user_sgpr_dispatch_ptr 0
		.amdhsa_user_sgpr_queue_ptr 0
		.amdhsa_user_sgpr_kernarg_segment_ptr 1
		.amdhsa_user_sgpr_dispatch_id 0
		.amdhsa_user_sgpr_flat_scratch_init 0
		.amdhsa_user_sgpr_private_segment_size 0
		.amdhsa_uses_dynamic_stack 0
		.amdhsa_system_sgpr_private_segment_wavefront_offset 0
		.amdhsa_system_sgpr_workgroup_id_x 1
		.amdhsa_system_sgpr_workgroup_id_y 0
		.amdhsa_system_sgpr_workgroup_id_z 0
		.amdhsa_system_sgpr_workgroup_info 0
		.amdhsa_system_vgpr_workitem_id 0
		.amdhsa_next_free_vgpr 181
		.amdhsa_next_free_sgpr 60
		.amdhsa_reserve_vcc 1
		.amdhsa_reserve_flat_scratch 0
		.amdhsa_float_round_mode_32 0
		.amdhsa_float_round_mode_16_64 0
		.amdhsa_float_denorm_mode_32 3
		.amdhsa_float_denorm_mode_16_64 3
		.amdhsa_dx10_clamp 1
		.amdhsa_ieee_mode 1
		.amdhsa_fp16_overflow 0
		.amdhsa_exception_fp_ieee_invalid_op 0
		.amdhsa_exception_fp_denorm_src 0
		.amdhsa_exception_fp_ieee_div_zero 0
		.amdhsa_exception_fp_ieee_overflow 0
		.amdhsa_exception_fp_ieee_underflow 0
		.amdhsa_exception_fp_ieee_inexact 0
		.amdhsa_exception_int_div_zero 0
	.end_amdhsa_kernel
	.text
.Lfunc_end0:
	.size	fft_rtc_fwd_len714_factors_3_17_7_2_wgs_51_tpt_51_halfLds_dp_op_CI_CI_sbrr_dirReg, .Lfunc_end0-fft_rtc_fwd_len714_factors_3_17_7_2_wgs_51_tpt_51_halfLds_dp_op_CI_CI_sbrr_dirReg
                                        ; -- End function
	.section	.AMDGPU.csdata,"",@progbits
; Kernel info:
; codeLenInByte = 14964
; NumSgprs: 64
; NumVgprs: 181
; ScratchSize: 0
; MemoryBound: 1
; FloatMode: 240
; IeeeMode: 1
; LDSByteSize: 0 bytes/workgroup (compile time only)
; SGPRBlocks: 7
; VGPRBlocks: 45
; NumSGPRsForWavesPerEU: 64
; NumVGPRsForWavesPerEU: 181
; Occupancy: 1
; WaveLimiterHint : 1
; COMPUTE_PGM_RSRC2:SCRATCH_EN: 0
; COMPUTE_PGM_RSRC2:USER_SGPR: 6
; COMPUTE_PGM_RSRC2:TRAP_HANDLER: 0
; COMPUTE_PGM_RSRC2:TGID_X_EN: 1
; COMPUTE_PGM_RSRC2:TGID_Y_EN: 0
; COMPUTE_PGM_RSRC2:TGID_Z_EN: 0
; COMPUTE_PGM_RSRC2:TIDIG_COMP_CNT: 0
	.type	__hip_cuid_84a3f3e6873f7492,@object ; @__hip_cuid_84a3f3e6873f7492
	.section	.bss,"aw",@nobits
	.globl	__hip_cuid_84a3f3e6873f7492
__hip_cuid_84a3f3e6873f7492:
	.byte	0                               ; 0x0
	.size	__hip_cuid_84a3f3e6873f7492, 1

	.ident	"AMD clang version 19.0.0git (https://github.com/RadeonOpenCompute/llvm-project roc-6.4.0 25133 c7fe45cf4b819c5991fe208aaa96edf142730f1d)"
	.section	".note.GNU-stack","",@progbits
	.addrsig
	.addrsig_sym __hip_cuid_84a3f3e6873f7492
	.amdgpu_metadata
---
amdhsa.kernels:
  - .args:
      - .actual_access:  read_only
        .address_space:  global
        .offset:         0
        .size:           8
        .value_kind:     global_buffer
      - .offset:         8
        .size:           8
        .value_kind:     by_value
      - .actual_access:  read_only
        .address_space:  global
        .offset:         16
        .size:           8
        .value_kind:     global_buffer
      - .actual_access:  read_only
        .address_space:  global
        .offset:         24
        .size:           8
        .value_kind:     global_buffer
      - .actual_access:  read_only
        .address_space:  global
        .offset:         32
        .size:           8
        .value_kind:     global_buffer
      - .offset:         40
        .size:           8
        .value_kind:     by_value
      - .actual_access:  read_only
        .address_space:  global
        .offset:         48
        .size:           8
        .value_kind:     global_buffer
      - .actual_access:  read_only
        .address_space:  global
        .offset:         56
        .size:           8
        .value_kind:     global_buffer
      - .offset:         64
        .size:           4
        .value_kind:     by_value
      - .actual_access:  read_only
        .address_space:  global
        .offset:         72
        .size:           8
        .value_kind:     global_buffer
      - .actual_access:  read_only
        .address_space:  global
        .offset:         80
        .size:           8
        .value_kind:     global_buffer
      - .actual_access:  read_only
        .address_space:  global
        .offset:         88
        .size:           8
        .value_kind:     global_buffer
      - .actual_access:  write_only
        .address_space:  global
        .offset:         96
        .size:           8
        .value_kind:     global_buffer
    .group_segment_fixed_size: 0
    .kernarg_segment_align: 8
    .kernarg_segment_size: 104
    .language:       OpenCL C
    .language_version:
      - 2
      - 0
    .max_flat_workgroup_size: 51
    .name:           fft_rtc_fwd_len714_factors_3_17_7_2_wgs_51_tpt_51_halfLds_dp_op_CI_CI_sbrr_dirReg
    .private_segment_fixed_size: 0
    .sgpr_count:     64
    .sgpr_spill_count: 0
    .symbol:         fft_rtc_fwd_len714_factors_3_17_7_2_wgs_51_tpt_51_halfLds_dp_op_CI_CI_sbrr_dirReg.kd
    .uniform_work_group_size: 1
    .uses_dynamic_stack: false
    .vgpr_count:     181
    .vgpr_spill_count: 0
    .wavefront_size: 64
amdhsa.target:   amdgcn-amd-amdhsa--gfx906
amdhsa.version:
  - 1
  - 2
...

	.end_amdgpu_metadata
